;; amdgpu-corpus repo=ROCm/rocFFT kind=compiled arch=gfx906 opt=O3
	.text
	.amdgcn_target "amdgcn-amd-amdhsa--gfx906"
	.amdhsa_code_object_version 6
	.protected	fft_rtc_fwd_len2250_factors_10_3_5_3_5_wgs_90_tpt_90_halfLds_sp_ip_CI_unitstride_sbrr_C2R_dirReg ; -- Begin function fft_rtc_fwd_len2250_factors_10_3_5_3_5_wgs_90_tpt_90_halfLds_sp_ip_CI_unitstride_sbrr_C2R_dirReg
	.globl	fft_rtc_fwd_len2250_factors_10_3_5_3_5_wgs_90_tpt_90_halfLds_sp_ip_CI_unitstride_sbrr_C2R_dirReg
	.p2align	8
	.type	fft_rtc_fwd_len2250_factors_10_3_5_3_5_wgs_90_tpt_90_halfLds_sp_ip_CI_unitstride_sbrr_C2R_dirReg,@function
fft_rtc_fwd_len2250_factors_10_3_5_3_5_wgs_90_tpt_90_halfLds_sp_ip_CI_unitstride_sbrr_C2R_dirReg: ; @fft_rtc_fwd_len2250_factors_10_3_5_3_5_wgs_90_tpt_90_halfLds_sp_ip_CI_unitstride_sbrr_C2R_dirReg
; %bb.0:
	s_load_dwordx2 s[12:13], s[4:5], 0x50
	s_load_dwordx4 s[8:11], s[4:5], 0x0
	s_load_dwordx2 s[2:3], s[4:5], 0x18
	v_mul_u32_u24_e32 v1, 0x2d9, v0
	v_add_u32_sdwa v5, s6, v1 dst_sel:DWORD dst_unused:UNUSED_PAD src0_sel:DWORD src1_sel:WORD_1
	v_mov_b32_e32 v3, 0
	s_waitcnt lgkmcnt(0)
	v_cmp_lt_u64_e64 s[0:1], s[10:11], 2
	v_mov_b32_e32 v1, 0
	v_mov_b32_e32 v6, v3
	s_and_b64 vcc, exec, s[0:1]
	v_mov_b32_e32 v2, 0
	s_cbranch_vccnz .LBB0_8
; %bb.1:
	s_load_dwordx2 s[0:1], s[4:5], 0x10
	s_add_u32 s6, s2, 8
	s_addc_u32 s7, s3, 0
	v_mov_b32_e32 v1, 0
	v_mov_b32_e32 v2, 0
	s_waitcnt lgkmcnt(0)
	s_add_u32 s14, s0, 8
	s_addc_u32 s15, s1, 0
	s_mov_b64 s[16:17], 1
.LBB0_2:                                ; =>This Inner Loop Header: Depth=1
	s_load_dwordx2 s[18:19], s[14:15], 0x0
                                        ; implicit-def: $vgpr7_vgpr8
	s_waitcnt lgkmcnt(0)
	v_or_b32_e32 v4, s19, v6
	v_cmp_ne_u64_e32 vcc, 0, v[3:4]
	s_and_saveexec_b64 s[0:1], vcc
	s_xor_b64 s[20:21], exec, s[0:1]
	s_cbranch_execz .LBB0_4
; %bb.3:                                ;   in Loop: Header=BB0_2 Depth=1
	v_cvt_f32_u32_e32 v4, s18
	v_cvt_f32_u32_e32 v7, s19
	s_sub_u32 s0, 0, s18
	s_subb_u32 s1, 0, s19
	v_mac_f32_e32 v4, 0x4f800000, v7
	v_rcp_f32_e32 v4, v4
	v_mul_f32_e32 v4, 0x5f7ffffc, v4
	v_mul_f32_e32 v7, 0x2f800000, v4
	v_trunc_f32_e32 v7, v7
	v_mac_f32_e32 v4, 0xcf800000, v7
	v_cvt_u32_f32_e32 v7, v7
	v_cvt_u32_f32_e32 v4, v4
	v_mul_lo_u32 v8, s0, v7
	v_mul_hi_u32 v9, s0, v4
	v_mul_lo_u32 v11, s1, v4
	v_mul_lo_u32 v10, s0, v4
	v_add_u32_e32 v8, v9, v8
	v_add_u32_e32 v8, v8, v11
	v_mul_hi_u32 v9, v4, v10
	v_mul_lo_u32 v11, v4, v8
	v_mul_hi_u32 v13, v4, v8
	v_mul_hi_u32 v12, v7, v10
	v_mul_lo_u32 v10, v7, v10
	v_mul_hi_u32 v14, v7, v8
	v_add_co_u32_e32 v9, vcc, v9, v11
	v_addc_co_u32_e32 v11, vcc, 0, v13, vcc
	v_mul_lo_u32 v8, v7, v8
	v_add_co_u32_e32 v9, vcc, v9, v10
	v_addc_co_u32_e32 v9, vcc, v11, v12, vcc
	v_addc_co_u32_e32 v10, vcc, 0, v14, vcc
	v_add_co_u32_e32 v8, vcc, v9, v8
	v_addc_co_u32_e32 v9, vcc, 0, v10, vcc
	v_add_co_u32_e32 v4, vcc, v4, v8
	v_addc_co_u32_e32 v7, vcc, v7, v9, vcc
	v_mul_lo_u32 v8, s0, v7
	v_mul_hi_u32 v9, s0, v4
	v_mul_lo_u32 v10, s1, v4
	v_mul_lo_u32 v11, s0, v4
	v_add_u32_e32 v8, v9, v8
	v_add_u32_e32 v8, v8, v10
	v_mul_lo_u32 v12, v4, v8
	v_mul_hi_u32 v13, v4, v11
	v_mul_hi_u32 v14, v4, v8
	;; [unrolled: 1-line block ×3, first 2 shown]
	v_mul_lo_u32 v11, v7, v11
	v_mul_hi_u32 v9, v7, v8
	v_add_co_u32_e32 v12, vcc, v13, v12
	v_addc_co_u32_e32 v13, vcc, 0, v14, vcc
	v_mul_lo_u32 v8, v7, v8
	v_add_co_u32_e32 v11, vcc, v12, v11
	v_addc_co_u32_e32 v10, vcc, v13, v10, vcc
	v_addc_co_u32_e32 v9, vcc, 0, v9, vcc
	v_add_co_u32_e32 v8, vcc, v10, v8
	v_addc_co_u32_e32 v9, vcc, 0, v9, vcc
	v_add_co_u32_e32 v4, vcc, v4, v8
	v_addc_co_u32_e32 v9, vcc, v7, v9, vcc
	v_mad_u64_u32 v[7:8], s[0:1], v5, v9, 0
	v_mul_hi_u32 v10, v5, v4
	v_add_co_u32_e32 v11, vcc, v10, v7
	v_addc_co_u32_e32 v12, vcc, 0, v8, vcc
	v_mad_u64_u32 v[7:8], s[0:1], v6, v4, 0
	v_mad_u64_u32 v[9:10], s[0:1], v6, v9, 0
	v_add_co_u32_e32 v4, vcc, v11, v7
	v_addc_co_u32_e32 v4, vcc, v12, v8, vcc
	v_addc_co_u32_e32 v7, vcc, 0, v10, vcc
	v_add_co_u32_e32 v4, vcc, v4, v9
	v_addc_co_u32_e32 v9, vcc, 0, v7, vcc
	v_mul_lo_u32 v10, s19, v4
	v_mul_lo_u32 v11, s18, v9
	v_mad_u64_u32 v[7:8], s[0:1], s18, v4, 0
	v_add3_u32 v8, v8, v11, v10
	v_sub_u32_e32 v10, v6, v8
	v_mov_b32_e32 v11, s19
	v_sub_co_u32_e32 v7, vcc, v5, v7
	v_subb_co_u32_e64 v10, s[0:1], v10, v11, vcc
	v_subrev_co_u32_e64 v11, s[0:1], s18, v7
	v_subbrev_co_u32_e64 v10, s[0:1], 0, v10, s[0:1]
	v_cmp_le_u32_e64 s[0:1], s19, v10
	v_cndmask_b32_e64 v12, 0, -1, s[0:1]
	v_cmp_le_u32_e64 s[0:1], s18, v11
	v_cndmask_b32_e64 v11, 0, -1, s[0:1]
	v_cmp_eq_u32_e64 s[0:1], s19, v10
	v_cndmask_b32_e64 v10, v12, v11, s[0:1]
	v_add_co_u32_e64 v11, s[0:1], 2, v4
	v_addc_co_u32_e64 v12, s[0:1], 0, v9, s[0:1]
	v_add_co_u32_e64 v13, s[0:1], 1, v4
	v_addc_co_u32_e64 v14, s[0:1], 0, v9, s[0:1]
	v_subb_co_u32_e32 v8, vcc, v6, v8, vcc
	v_cmp_ne_u32_e64 s[0:1], 0, v10
	v_cmp_le_u32_e32 vcc, s19, v8
	v_cndmask_b32_e64 v10, v14, v12, s[0:1]
	v_cndmask_b32_e64 v12, 0, -1, vcc
	v_cmp_le_u32_e32 vcc, s18, v7
	v_cndmask_b32_e64 v7, 0, -1, vcc
	v_cmp_eq_u32_e32 vcc, s19, v8
	v_cndmask_b32_e32 v7, v12, v7, vcc
	v_cmp_ne_u32_e32 vcc, 0, v7
	v_cndmask_b32_e64 v7, v13, v11, s[0:1]
	v_cndmask_b32_e32 v8, v9, v10, vcc
	v_cndmask_b32_e32 v7, v4, v7, vcc
.LBB0_4:                                ;   in Loop: Header=BB0_2 Depth=1
	s_andn2_saveexec_b64 s[0:1], s[20:21]
	s_cbranch_execz .LBB0_6
; %bb.5:                                ;   in Loop: Header=BB0_2 Depth=1
	v_cvt_f32_u32_e32 v4, s18
	s_sub_i32 s20, 0, s18
	v_rcp_iflag_f32_e32 v4, v4
	v_mul_f32_e32 v4, 0x4f7ffffe, v4
	v_cvt_u32_f32_e32 v4, v4
	v_mul_lo_u32 v7, s20, v4
	v_mul_hi_u32 v7, v4, v7
	v_add_u32_e32 v4, v4, v7
	v_mul_hi_u32 v4, v5, v4
	v_mul_lo_u32 v7, v4, s18
	v_add_u32_e32 v8, 1, v4
	v_sub_u32_e32 v7, v5, v7
	v_subrev_u32_e32 v9, s18, v7
	v_cmp_le_u32_e32 vcc, s18, v7
	v_cndmask_b32_e32 v7, v7, v9, vcc
	v_cndmask_b32_e32 v4, v4, v8, vcc
	v_add_u32_e32 v8, 1, v4
	v_cmp_le_u32_e32 vcc, s18, v7
	v_cndmask_b32_e32 v7, v4, v8, vcc
	v_mov_b32_e32 v8, v3
.LBB0_6:                                ;   in Loop: Header=BB0_2 Depth=1
	s_or_b64 exec, exec, s[0:1]
	v_mul_lo_u32 v4, v8, s18
	v_mul_lo_u32 v11, v7, s19
	v_mad_u64_u32 v[9:10], s[0:1], v7, s18, 0
	s_load_dwordx2 s[0:1], s[6:7], 0x0
	s_add_u32 s16, s16, 1
	v_add3_u32 v4, v10, v11, v4
	v_sub_co_u32_e32 v5, vcc, v5, v9
	v_subb_co_u32_e32 v4, vcc, v6, v4, vcc
	s_waitcnt lgkmcnt(0)
	v_mul_lo_u32 v4, s0, v4
	v_mul_lo_u32 v6, s1, v5
	v_mad_u64_u32 v[1:2], s[0:1], s0, v5, v[1:2]
	s_addc_u32 s17, s17, 0
	s_add_u32 s6, s6, 8
	v_add3_u32 v2, v6, v2, v4
	v_mov_b32_e32 v4, s10
	v_mov_b32_e32 v5, s11
	s_addc_u32 s7, s7, 0
	v_cmp_ge_u64_e32 vcc, s[16:17], v[4:5]
	s_add_u32 s14, s14, 8
	s_addc_u32 s15, s15, 0
	s_cbranch_vccnz .LBB0_9
; %bb.7:                                ;   in Loop: Header=BB0_2 Depth=1
	v_mov_b32_e32 v5, v7
	v_mov_b32_e32 v6, v8
	s_branch .LBB0_2
.LBB0_8:
	v_mov_b32_e32 v8, v6
	v_mov_b32_e32 v7, v5
.LBB0_9:
	s_lshl_b64 s[0:1], s[10:11], 3
	s_add_u32 s0, s2, s0
	s_addc_u32 s1, s3, s1
	s_load_dwordx2 s[2:3], s[0:1], 0x0
	s_load_dwordx2 s[6:7], s[4:5], 0x20
	s_waitcnt lgkmcnt(0)
	v_mad_u64_u32 v[1:2], s[0:1], s2, v7, v[1:2]
	v_mul_lo_u32 v3, s2, v8
	v_mul_lo_u32 v4, s3, v7
	s_mov_b32 s0, 0x2d82d83
	v_mul_hi_u32 v5, v0, s0
	v_cmp_gt_u64_e64 s[0:1], s[6:7], v[7:8]
	v_add3_u32 v2, v4, v2, v3
	v_lshlrev_b64 v[58:59], 3, v[1:2]
	v_mul_u32_u24_e32 v3, 0x5a, v5
	v_sub_u32_e32 v56, v0, v3
	s_and_saveexec_b64 s[2:3], s[0:1]
	s_cbranch_execz .LBB0_13
; %bb.10:
	v_mov_b32_e32 v57, 0
	v_mov_b32_e32 v0, s13
	v_add_co_u32_e32 v1, vcc, s12, v58
	v_lshlrev_b64 v[2:3], 3, v[56:57]
	v_addc_co_u32_e32 v0, vcc, v0, v59, vcc
	v_add_co_u32_e32 v2, vcc, v1, v2
	v_addc_co_u32_e32 v3, vcc, v0, v3, vcc
	s_movk_i32 s4, 0x1000
	v_add_co_u32_e32 v6, vcc, s4, v2
	v_addc_co_u32_e32 v7, vcc, 0, v3, vcc
	s_movk_i32 s4, 0x2000
	global_load_dwordx2 v[4:5], v[2:3], off offset:2160
	global_load_dwordx2 v[8:9], v[2:3], off offset:2880
	;; [unrolled: 1-line block ×9, first 2 shown]
	v_add_co_u32_e32 v6, vcc, s4, v2
	v_addc_co_u32_e32 v7, vcc, 0, v3, vcc
	s_movk_i32 s4, 0x3000
	v_add_co_u32_e32 v38, vcc, s4, v2
	v_addc_co_u32_e32 v39, vcc, 0, v3, vcc
	global_load_dwordx2 v[24:25], v[6:7], off offset:448
	global_load_dwordx2 v[26:27], v[6:7], off offset:1168
	;; [unrolled: 1-line block ×4, first 2 shown]
	global_load_dwordx2 v[32:33], v[2:3], off
	global_load_dwordx2 v[34:35], v[2:3], off offset:1440
	global_load_dwordx2 v[36:37], v[2:3], off offset:720
	v_add_co_u32_e32 v2, vcc, 0x4000, v2
	global_load_dwordx2 v[40:41], v[6:7], off offset:3328
	global_load_dwordx2 v[42:43], v[6:7], off offset:4048
	;; [unrolled: 1-line block ×4, first 2 shown]
	v_addc_co_u32_e32 v3, vcc, 0, v3, vcc
	global_load_dwordx2 v[6:7], v[38:39], off offset:2112
	global_load_dwordx2 v[48:49], v[38:39], off offset:2832
	;; [unrolled: 1-line block ×5, first 2 shown]
	v_lshl_add_u32 v2, v56, 3, 0
	s_movk_i32 s4, 0x59
	v_add_u32_e32 v3, 0x400, v2
	v_cmp_eq_u32_e32 vcc, s4, v56
	v_add_u32_e32 v38, 0x800, v2
	v_add_u32_e32 v39, 0x1000, v2
	;; [unrolled: 1-line block ×10, first 2 shown]
	s_waitcnt vmcnt(10)
	ds_write2_b64 v3, v[34:35], v[4:5] offset0:52 offset1:142
	ds_write2_b64 v38, v[8:9], v[10:11] offset0:104 offset1:194
	s_waitcnt vmcnt(9)
	ds_write2_b64 v2, v[32:33], v[36:37] offset1:90
	ds_write2_b64 v39, v[12:13], v[14:15] offset0:28 offset1:118
	ds_write2_b64 v60, v[16:17], v[18:19] offset0:80 offset1:170
	;; [unrolled: 1-line block ×5, first 2 shown]
	s_waitcnt vmcnt(7)
	ds_write2_b64 v64, v[40:41], v[42:43] offset0:160 offset1:250
	s_waitcnt vmcnt(5)
	ds_write2_b64 v65, v[44:45], v[46:47] offset0:84 offset1:174
	;; [unrolled: 2-line block ×4, first 2 shown]
	s_waitcnt vmcnt(0)
	ds_write_b64 v2, v[54:55] offset:17280
	s_and_saveexec_b64 s[4:5], vcc
	s_cbranch_execz .LBB0_12
; %bb.11:
	v_add_co_u32_e32 v1, vcc, 0x4000, v1
	v_addc_co_u32_e32 v2, vcc, 0, v0, vcc
	global_load_dwordx2 v[0:1], v[1:2], off offset:1616
	v_mov_b32_e32 v56, 0x59
	s_waitcnt vmcnt(0)
	ds_write_b64 v57, v[0:1] offset:18000
.LBB0_12:
	s_or_b64 exec, exec, s[4:5]
.LBB0_13:
	s_or_b64 exec, exec, s[2:3]
	v_lshlrev_b32_e32 v0, 3, v56
	v_add_u32_e32 v62, 0, v0
	s_waitcnt lgkmcnt(0)
	s_barrier
	v_sub_u32_e32 v4, 0, v0
	ds_read_b32 v5, v62
	ds_read_b32 v6, v4 offset:18000
	s_add_u32 s4, s8, 0x4600
	s_addc_u32 s5, s9, 0
	v_cmp_ne_u32_e32 vcc, 0, v56
                                        ; implicit-def: $vgpr0_vgpr1
	s_waitcnt lgkmcnt(0)
	v_add_f32_e32 v2, v6, v5
	v_sub_f32_e32 v3, v5, v6
	s_and_saveexec_b64 s[2:3], vcc
	s_xor_b64 s[2:3], exec, s[2:3]
	s_cbranch_execz .LBB0_15
; %bb.14:
	v_mov_b32_e32 v57, 0
	v_lshlrev_b64 v[0:1], 3, v[56:57]
	v_mov_b32_e32 v2, s5
	v_add_co_u32_e32 v0, vcc, s4, v0
	v_addc_co_u32_e32 v1, vcc, v2, v1, vcc
	global_load_dwordx2 v[0:1], v[0:1], off
	ds_read_b32 v2, v4 offset:18004
	ds_read_b32 v3, v62 offset:4
	v_add_f32_e32 v7, v6, v5
	v_sub_f32_e32 v8, v5, v6
	s_waitcnt lgkmcnt(0)
	v_add_f32_e32 v9, v2, v3
	v_sub_f32_e32 v2, v3, v2
	s_waitcnt vmcnt(0)
	v_fma_f32 v10, v8, v1, v7
	v_fma_f32 v3, v9, v1, v2
	v_fma_f32 v5, -v8, v1, v7
	v_fma_f32 v6, v9, v1, -v2
	v_fma_f32 v2, -v0, v9, v10
	v_fmac_f32_e32 v3, v8, v0
	v_fmac_f32_e32 v5, v0, v9
	;; [unrolled: 1-line block ×3, first 2 shown]
	v_mov_b32_e32 v0, v56
	ds_write_b64 v4, v[5:6] offset:18000
	v_mov_b32_e32 v1, v57
.LBB0_15:
	s_andn2_saveexec_b64 s[2:3], s[2:3]
	s_cbranch_execz .LBB0_17
; %bb.16:
	v_mov_b32_e32 v7, 0
	ds_read_b64 v[0:1], v7 offset:9000
	s_waitcnt lgkmcnt(0)
	v_add_f32_e32 v5, v0, v0
	v_mul_f32_e32 v6, -2.0, v1
	v_mov_b32_e32 v0, 0
	v_mov_b32_e32 v1, 0
	ds_write_b64 v7, v[5:6] offset:9000
.LBB0_17:
	s_or_b64 exec, exec, s[2:3]
	v_lshlrev_b64 v[0:1], 3, v[0:1]
	v_mov_b32_e32 v5, s5
	v_add_co_u32_e32 v0, vcc, s4, v0
	v_addc_co_u32_e32 v1, vcc, v5, v1, vcc
	global_load_dwordx2 v[5:6], v[0:1], off offset:720
	global_load_dwordx2 v[7:8], v[0:1], off offset:1440
	;; [unrolled: 1-line block ×4, first 2 shown]
	ds_write_b64 v62, v[2:3]
	ds_read_b64 v[2:3], v62 offset:720
	ds_read_b64 v[13:14], v4 offset:17280
	global_load_dwordx2 v[15:16], v[0:1], off offset:3600
	s_movk_i32 s2, 0x1000
	s_waitcnt lgkmcnt(0)
	v_add_f32_e32 v17, v2, v13
	v_add_f32_e32 v18, v14, v3
	v_sub_f32_e32 v19, v2, v13
	v_sub_f32_e32 v2, v3, v14
	s_waitcnt vmcnt(4)
	v_fma_f32 v20, v19, v6, v17
	v_fma_f32 v3, v18, v6, v2
	v_fma_f32 v13, -v19, v6, v17
	v_fma_f32 v14, v18, v6, -v2
	v_fma_f32 v2, -v5, v18, v20
	v_fmac_f32_e32 v3, v19, v5
	v_fmac_f32_e32 v13, v5, v18
	;; [unrolled: 1-line block ×3, first 2 shown]
	ds_write_b64 v62, v[2:3] offset:720
	ds_write_b64 v4, v[13:14] offset:17280
	v_add_co_u32_e32 v13, vcc, s2, v0
	v_addc_co_u32_e32 v14, vcc, 0, v1, vcc
	ds_read_b64 v[2:3], v62 offset:1440
	ds_read_b64 v[5:6], v4 offset:16560
	global_load_dwordx2 v[17:18], v[13:14], off offset:224
	v_cmp_gt_u32_e64 s[2:3], 45, v56
	s_waitcnt lgkmcnt(0)
	v_add_f32_e32 v19, v2, v5
	v_add_f32_e32 v20, v6, v3
	v_sub_f32_e32 v21, v2, v5
	v_sub_f32_e32 v2, v3, v6
	s_waitcnt vmcnt(4)
	v_fma_f32 v22, v21, v8, v19
	v_fma_f32 v3, v20, v8, v2
	v_fma_f32 v5, -v21, v8, v19
	v_fma_f32 v6, v20, v8, -v2
	v_fma_f32 v2, -v7, v20, v22
	v_fmac_f32_e32 v3, v21, v7
	v_fmac_f32_e32 v5, v7, v20
	v_fmac_f32_e32 v6, v21, v7
	ds_write_b64 v62, v[2:3] offset:1440
	ds_write_b64 v4, v[5:6] offset:16560
	ds_read_b64 v[2:3], v62 offset:2160
	ds_read_b64 v[5:6], v4 offset:15840
	global_load_dwordx2 v[7:8], v[13:14], off offset:944
	s_waitcnt lgkmcnt(0)
	v_add_f32_e32 v19, v2, v5
	v_add_f32_e32 v20, v6, v3
	v_sub_f32_e32 v21, v2, v5
	v_sub_f32_e32 v2, v3, v6
	s_waitcnt vmcnt(4)
	v_fma_f32 v22, v21, v10, v19
	v_fma_f32 v3, v20, v10, v2
	v_fma_f32 v5, -v21, v10, v19
	v_fma_f32 v6, v20, v10, -v2
	v_fma_f32 v2, -v9, v20, v22
	v_fmac_f32_e32 v3, v21, v9
	v_fmac_f32_e32 v5, v9, v20
	v_fmac_f32_e32 v6, v21, v9
	ds_write_b64 v62, v[2:3] offset:2160
	ds_write_b64 v4, v[5:6] offset:15840
	ds_read_b64 v[2:3], v62 offset:2880
	ds_read_b64 v[5:6], v4 offset:15120
	global_load_dwordx2 v[9:10], v[13:14], off offset:1664
	s_waitcnt lgkmcnt(0)
	v_add_f32_e32 v19, v2, v5
	v_add_f32_e32 v20, v6, v3
	v_sub_f32_e32 v21, v2, v5
	v_sub_f32_e32 v2, v3, v6
	s_waitcnt vmcnt(4)
	v_fma_f32 v22, v21, v12, v19
	v_fma_f32 v3, v20, v12, v2
	v_fma_f32 v5, -v21, v12, v19
	v_fma_f32 v6, v20, v12, -v2
	v_fma_f32 v2, -v11, v20, v22
	v_fmac_f32_e32 v3, v21, v11
	v_fmac_f32_e32 v5, v11, v20
	v_fmac_f32_e32 v6, v21, v11
	ds_write_b64 v62, v[2:3] offset:2880
	ds_write_b64 v4, v[5:6] offset:15120
	ds_read_b64 v[2:3], v62 offset:3600
	ds_read_b64 v[5:6], v4 offset:14400
	global_load_dwordx2 v[11:12], v[13:14], off offset:2384
	s_waitcnt lgkmcnt(0)
	v_add_f32_e32 v19, v2, v5
	v_add_f32_e32 v20, v6, v3
	v_sub_f32_e32 v21, v2, v5
	v_sub_f32_e32 v2, v3, v6
	s_waitcnt vmcnt(4)
	v_fma_f32 v22, v21, v16, v19
	v_fma_f32 v3, v20, v16, v2
	v_fma_f32 v5, -v21, v16, v19
	v_fma_f32 v6, v20, v16, -v2
	v_fma_f32 v2, -v15, v20, v22
	v_fmac_f32_e32 v3, v21, v15
	v_fmac_f32_e32 v5, v15, v20
	v_fmac_f32_e32 v6, v21, v15
	ds_write_b64 v62, v[2:3] offset:3600
	ds_write_b64 v4, v[5:6] offset:14400
	ds_read_b64 v[2:3], v62 offset:4320
	ds_read_b64 v[5:6], v4 offset:13680
	global_load_dwordx2 v[15:16], v[13:14], off offset:3104
	s_waitcnt lgkmcnt(0)
	v_add_f32_e32 v19, v2, v5
	v_add_f32_e32 v20, v6, v3
	v_sub_f32_e32 v21, v2, v5
	v_sub_f32_e32 v2, v3, v6
	s_waitcnt vmcnt(4)
	v_fma_f32 v22, v21, v18, v19
	v_fma_f32 v3, v20, v18, v2
	v_fma_f32 v5, -v21, v18, v19
	v_fma_f32 v6, v20, v18, -v2
	v_fma_f32 v2, -v17, v20, v22
	v_fmac_f32_e32 v3, v21, v17
	v_fmac_f32_e32 v5, v17, v20
	v_fmac_f32_e32 v6, v21, v17
	ds_write_b64 v62, v[2:3] offset:4320
	ds_write_b64 v4, v[5:6] offset:13680
	ds_read_b64 v[2:3], v62 offset:5040
	ds_read_b64 v[5:6], v4 offset:12960
	global_load_dwordx2 v[13:14], v[13:14], off offset:3824
	s_waitcnt lgkmcnt(0)
	v_add_f32_e32 v17, v2, v5
	v_add_f32_e32 v18, v6, v3
	v_sub_f32_e32 v19, v2, v5
	v_sub_f32_e32 v2, v3, v6
	s_waitcnt vmcnt(4)
	v_fma_f32 v20, v19, v8, v17
	v_fma_f32 v3, v18, v8, v2
	v_fma_f32 v5, -v19, v8, v17
	v_fma_f32 v6, v18, v8, -v2
	v_fma_f32 v2, -v7, v18, v20
	v_fmac_f32_e32 v3, v19, v7
	v_fmac_f32_e32 v5, v7, v18
	;; [unrolled: 1-line block ×3, first 2 shown]
	ds_write_b64 v62, v[2:3] offset:5040
	ds_write_b64 v4, v[5:6] offset:12960
	ds_read_b64 v[2:3], v62 offset:5760
	ds_read_b64 v[5:6], v4 offset:12240
	s_waitcnt lgkmcnt(0)
	v_add_f32_e32 v7, v2, v5
	v_add_f32_e32 v8, v6, v3
	v_sub_f32_e32 v17, v2, v5
	v_sub_f32_e32 v2, v3, v6
	s_waitcnt vmcnt(3)
	v_fma_f32 v18, v17, v10, v7
	v_fma_f32 v3, v8, v10, v2
	v_fma_f32 v5, -v17, v10, v7
	v_fma_f32 v6, v8, v10, -v2
	v_fma_f32 v2, -v9, v8, v18
	v_fmac_f32_e32 v3, v17, v9
	v_fmac_f32_e32 v5, v9, v8
	v_fmac_f32_e32 v6, v17, v9
	ds_write_b64 v62, v[2:3] offset:5760
	ds_write_b64 v4, v[5:6] offset:12240
	ds_read_b64 v[2:3], v62 offset:6480
	ds_read_b64 v[5:6], v4 offset:11520
	s_waitcnt lgkmcnt(0)
	v_add_f32_e32 v7, v2, v5
	v_add_f32_e32 v8, v6, v3
	v_sub_f32_e32 v5, v2, v5
	v_sub_f32_e32 v6, v3, v6
	s_waitcnt vmcnt(2)
	v_fma_f32 v2, v5, v12, v7
	v_fma_f32 v3, v8, v12, v6
	v_fma_f32 v2, -v11, v8, v2
	v_fmac_f32_e32 v3, v5, v11
	ds_write_b64 v62, v[2:3] offset:6480
	v_fma_f32 v2, -v5, v12, v7
	v_fma_f32 v3, v8, v12, -v6
	v_fmac_f32_e32 v2, v11, v8
	v_fmac_f32_e32 v3, v5, v11
	ds_write_b64 v4, v[2:3] offset:11520
	ds_read_b64 v[2:3], v62 offset:7200
	ds_read_b64 v[5:6], v4 offset:10800
	s_waitcnt lgkmcnt(0)
	v_add_f32_e32 v7, v2, v5
	v_add_f32_e32 v8, v6, v3
	v_sub_f32_e32 v5, v2, v5
	v_sub_f32_e32 v6, v3, v6
	s_waitcnt vmcnt(1)
	v_fma_f32 v2, v5, v16, v7
	v_fma_f32 v3, v8, v16, v6
	v_fma_f32 v2, -v15, v8, v2
	v_fmac_f32_e32 v3, v5, v15
	ds_write_b64 v62, v[2:3] offset:7200
	v_fma_f32 v2, -v5, v16, v7
	v_fma_f32 v3, v8, v16, -v6
	v_fmac_f32_e32 v2, v15, v8
	v_fmac_f32_e32 v3, v5, v15
	;; [unrolled: 18-line block ×3, first 2 shown]
	ds_write_b64 v4, v[2:3] offset:10080
	s_and_saveexec_b64 s[4:5], s[2:3]
	s_cbranch_execz .LBB0_19
; %bb.18:
	v_add_co_u32_e32 v0, vcc, 0x2000, v0
	v_addc_co_u32_e32 v1, vcc, 0, v1, vcc
	global_load_dwordx2 v[0:1], v[0:1], off offset:448
	ds_read_b64 v[2:3], v62 offset:8640
	ds_read_b64 v[5:6], v4 offset:9360
	s_waitcnt lgkmcnt(0)
	v_add_f32_e32 v7, v2, v5
	v_add_f32_e32 v8, v6, v3
	v_sub_f32_e32 v9, v2, v5
	v_sub_f32_e32 v3, v3, v6
	s_waitcnt vmcnt(0)
	v_fma_f32 v10, v9, v1, v7
	v_fma_f32 v2, v8, v1, v3
	v_fma_f32 v5, -v9, v1, v7
	v_fma_f32 v6, v8, v1, -v3
	v_fma_f32 v1, -v0, v8, v10
	v_fmac_f32_e32 v2, v9, v0
	v_fmac_f32_e32 v5, v0, v8
	v_fmac_f32_e32 v6, v9, v0
	ds_write_b64 v62, v[1:2] offset:8640
	ds_write_b64 v4, v[5:6] offset:9360
.LBB0_19:
	s_or_b64 exec, exec, s[4:5]
	v_add_u32_e32 v0, 0xc00, v62
	v_add_u32_e32 v63, 0x1800, v62
	;; [unrolled: 1-line block ×4, first 2 shown]
	s_waitcnt lgkmcnt(0)
	s_barrier
	s_barrier
	ds_read2_b64 v[0:3], v0 offset0:66 offset1:156
	ds_read2_b64 v[8:11], v63 offset0:132 offset1:222
	;; [unrolled: 1-line block ×4, first 2 shown]
	v_add_u32_e32 v16, 0x2400, v62
	v_add_u32_e32 v66, 0x1400, v62
	s_waitcnt lgkmcnt(2)
	v_sub_f32_e32 v17, v2, v10
	v_add_u32_e32 v65, 0x3000, v62
	s_waitcnt lgkmcnt(0)
	v_sub_f32_e32 v18, v14, v6
	v_add_f32_e32 v77, v17, v18
	v_add_u32_e32 v24, 0x4000, v62
	ds_read2_b64 v[20:23], v16 offset0:63 offset1:153
	ds_read2_b64 v[16:19], v66 offset0:125 offset1:215
	;; [unrolled: 1-line block ×4, first 2 shown]
	v_sub_f32_e32 v24, v3, v11
	v_sub_f32_e32 v25, v15, v7
	v_add_f32_e32 v78, v24, v25
	s_waitcnt lgkmcnt(2)
	v_sub_f32_e32 v24, v16, v20
	s_waitcnt lgkmcnt(0)
	v_sub_f32_e32 v25, v28, v32
	v_add_u32_e32 v67, 0x800, v62
	v_add_f32_e32 v79, v24, v25
	ds_read2_b64 v[24:27], v67 offset0:59 offset1:149
	v_sub_f32_e32 v36, v17, v21
	v_sub_f32_e32 v37, v29, v33
	v_add_f32_e32 v80, v36, v37
	v_add_f32_e32 v36, v20, v32
	s_waitcnt lgkmcnt(0)
	v_fma_f32 v81, -0.5, v36, v24
	ds_read2_b64 v[71:74], v62 offset1:90
	v_sub_f32_e32 v82, v17, v29
	v_mov_b32_e32 v36, v81
	v_fmac_f32_e32 v36, 0x3f737871, v82
	v_sub_f32_e32 v83, v21, v33
	v_fmac_f32_e32 v36, 0x3f167918, v83
	v_fmac_f32_e32 v36, 0x3e9e377a, v79
	v_mul_f32_e32 v87, 0x3f4f1bbd, v36
	v_mul_f32_e32 v88, 0xbf167918, v36
	s_waitcnt lgkmcnt(0)
	v_add_f32_e32 v36, v73, v2
	v_add_f32_e32 v36, v36, v10
	;; [unrolled: 1-line block ×5, first 2 shown]
	v_fma_f32 v90, -0.5, v36, v73
	v_add_f32_e32 v36, v74, v3
	v_add_f32_e32 v36, v36, v11
	;; [unrolled: 1-line block ×3, first 2 shown]
	v_sub_f32_e32 v96, v2, v14
	v_sub_f32_e32 v98, v10, v6
	;; [unrolled: 1-line block ×4, first 2 shown]
	v_add_f32_e32 v2, v2, v14
	v_add_f32_e32 v94, v36, v15
	;; [unrolled: 1-line block ×4, first 2 shown]
	v_fma_f32 v10, -0.5, v2, v73
	v_add_f32_e32 v2, v3, v15
	v_fma_f32 v95, -0.5, v36, v74
	v_fmac_f32_e32 v74, -0.5, v2
	v_sub_f32_e32 v93, v11, v7
	v_sub_f32_e32 v2, v11, v3
	v_mov_b32_e32 v11, v74
	v_sub_f32_e32 v91, v3, v15
	v_sub_f32_e32 v3, v7, v15
	v_fmac_f32_e32 v11, 0x3f737871, v98
	v_fmac_f32_e32 v74, 0xbf737871, v98
	v_add_f32_e32 v2, v2, v3
	v_fmac_f32_e32 v11, 0xbf167918, v96
	v_fmac_f32_e32 v74, 0x3f167918, v96
	v_mov_b32_e32 v14, v10
	v_fmac_f32_e32 v11, 0x3e9e377a, v2
	v_fmac_f32_e32 v74, 0x3e9e377a, v2
	v_sub_f32_e32 v2, v20, v16
	v_sub_f32_e32 v3, v32, v28
	v_fmac_f32_e32 v14, 0xbf737871, v93
	v_fmac_f32_e32 v10, 0x3f737871, v93
	v_add_f32_e32 v2, v2, v3
	v_add_f32_e32 v3, v16, v28
	v_fmac_f32_e32 v14, 0x3f167918, v91
	v_fmac_f32_e32 v10, 0xbf167918, v91
	v_fma_f32 v3, -0.5, v3, v24
	v_fmac_f32_e32 v14, 0x3e9e377a, v6
	v_fmac_f32_e32 v10, 0x3e9e377a, v6
	v_mov_b32_e32 v6, v3
	v_fmac_f32_e32 v6, 0xbf737871, v83
	v_fmac_f32_e32 v3, 0x3f737871, v83
	;; [unrolled: 1-line block ×6, first 2 shown]
	v_sub_f32_e32 v2, v21, v17
	v_sub_f32_e32 v7, v33, v29
	v_add_f32_e32 v2, v2, v7
	v_add_f32_e32 v7, v17, v29
	v_fma_f32 v7, -0.5, v7, v25
	v_sub_f32_e32 v86, v20, v32
	v_add_f32_e32 v36, v24, v16
	v_mov_b32_e32 v15, v7
	v_add_f32_e32 v37, v21, v33
	v_sub_f32_e32 v85, v16, v28
	v_add_f32_e32 v36, v36, v20
	v_fmac_f32_e32 v15, 0x3f737871, v86
	v_fmac_f32_e32 v7, 0xbf737871, v86
	v_fma_f32 v84, -0.5, v37, v25
	v_add_f32_e32 v36, v36, v32
	v_fmac_f32_e32 v15, 0xbf167918, v85
	v_fmac_f32_e32 v7, 0x3f167918, v85
	v_mov_b32_e32 v37, v84
	v_add_f32_e32 v99, v36, v28
	v_add_f32_e32 v36, v25, v17
	v_fmac_f32_e32 v15, 0x3e9e377a, v2
	v_fmac_f32_e32 v7, 0x3e9e377a, v2
	v_mul_f32_e32 v17, 0xbf737871, v6
	s_mov_b32 s6, 0x3f737871
	v_mul_f32_e32 v2, 0x3e9e377a, v3
	v_fmac_f32_e32 v37, 0xbf737871, v85
	v_add_f32_e32 v36, v36, v21
	v_mul_u32_u24_e32 v70, 10, v56
	v_mul_f32_e32 v16, 0x3f737871, v15
	v_fmac_f32_e32 v17, 0x3e9e377a, v15
	s_mov_b32 s7, 0xbf737871
	v_fma_f32 v15, v7, s6, -v2
	v_mul_f32_e32 v2, 0x3e9e377a, v7
	v_fmac_f32_e32 v81, 0xbf737871, v82
	v_fmac_f32_e32 v37, 0xbf167918, v86
	v_add_f32_e32 v36, v36, v33
	v_lshl_add_u32 v70, v70, 3, 0
	v_fmac_f32_e32 v16, 0x3e9e377a, v6
	v_fma_f32 v20, v3, s7, -v2
	v_fmac_f32_e32 v81, 0xbf167918, v83
	v_fmac_f32_e32 v84, 0x3f737871, v85
	;; [unrolled: 1-line block ×3, first 2 shown]
	v_add_f32_e32 v100, v36, v29
	v_add_u32_e32 v36, 0x1000, v62
	v_add_f32_e32 v2, v14, v16
	v_add_f32_e32 v3, v11, v17
	v_add_f32_e32 v6, v10, v15
	v_add_f32_e32 v7, v74, v20
	v_add_u32_e32 v21, 0x1c30, v70
	v_fmac_f32_e32 v81, 0x3e9e377a, v79
	v_fmac_f32_e32 v84, 0x3f167918, v86
	;; [unrolled: 1-line block ×4, first 2 shown]
	v_mov_b32_e32 v92, v90
	v_mov_b32_e32 v97, v95
	v_add_u32_e32 v68, 0x2000, v62
	v_add_u32_e32 v69, 0x2c00, v62
	ds_read2_b64 v[40:43], v36 offset0:118 offset1:163
	ds_read2_b64 v[36:39], v62 offset0:180 offset1:225
	;; [unrolled: 1-line block ×5, first 2 shown]
	s_waitcnt lgkmcnt(0)
	s_barrier
	ds_write2_b64 v21, v[2:3], v[6:7] offset1:1
	v_fmac_f32_e32 v90, 0xbf737871, v91
	v_fmac_f32_e32 v95, 0x3f737871, v96
	;; [unrolled: 1-line block ×3, first 2 shown]
	s_mov_b32 s5, 0x3f167918
	v_mul_f32_e32 v6, 0x3f4f1bbd, v81
	v_fmac_f32_e32 v92, 0x3f737871, v91
	v_fmac_f32_e32 v97, 0xbf737871, v96
	;; [unrolled: 1-line block ×4, first 2 shown]
	s_mov_b32 s4, 0xbf167918
	v_fma_f32 v21, v84, s5, -v6
	v_mul_f32_e32 v6, 0x3f4f1bbd, v84
	v_fmac_f32_e32 v92, 0x3f167918, v93
	v_fmac_f32_e32 v97, 0xbf167918, v98
	;; [unrolled: 1-line block ×4, first 2 shown]
	v_fma_f32 v24, v81, s4, -v6
	v_fmac_f32_e32 v92, 0x3e9e377a, v77
	v_fmac_f32_e32 v97, 0x3e9e377a, v78
	v_sub_f32_e32 v2, v89, v99
	v_sub_f32_e32 v3, v94, v100
	v_add_f32_e32 v6, v90, v21
	v_add_f32_e32 v7, v95, v24
	v_add_u32_e32 v25, 0x1c40, v70
	ds_write2_b64 v25, v[6:7], v[2:3] offset1:1
	v_sub_f32_e32 v2, v92, v87
	v_sub_f32_e32 v3, v97, v88
	;; [unrolled: 1-line block ×4, first 2 shown]
	v_add_u32_e32 v11, 0x1c50, v70
	ds_write2_b64 v11, v[2:3], v[6:7] offset1:1
	v_sub_f32_e32 v2, v90, v21
	v_sub_f32_e32 v3, v95, v24
	;; [unrolled: 1-line block ×4, first 2 shown]
	v_add_u32_e32 v10, 0x1c60, v70
	ds_write2_b64 v10, v[6:7], v[2:3] offset1:1
	v_add_f32_e32 v2, v71, v0
	v_add_f32_e32 v2, v2, v8
	;; [unrolled: 1-line block ×4, first 2 shown]
	v_sub_f32_e32 v7, v9, v5
	v_sub_f32_e32 v10, v0, v8
	;; [unrolled: 1-line block ×3, first 2 shown]
	v_add_f32_e32 v14, v9, v5
	v_sub_f32_e32 v15, v1, v9
	v_sub_f32_e32 v9, v9, v1
	;; [unrolled: 1-line block ×3, first 2 shown]
	v_add_f32_e32 v17, v0, v12
	v_sub_f32_e32 v20, v0, v12
	v_add_f32_e32 v0, v1, v13
	v_add_f32_e32 v1, v2, v4
	;; [unrolled: 1-line block ×3, first 2 shown]
	v_sub_f32_e32 v8, v8, v4
	v_add_f32_e32 v2, v3, v5
	v_sub_f32_e32 v3, v12, v4
	v_sub_f32_e32 v4, v4, v12
	;; [unrolled: 1-line block ×3, first 2 shown]
	v_add_f32_e32 v12, v1, v12
	v_fma_f32 v24, -0.5, v0, v72
	v_sub_f32_e32 v0, v42, v50
	v_sub_f32_e32 v1, v46, v54
	v_add_f32_e32 v15, v15, v21
	v_add_f32_e32 v21, v0, v1
	v_sub_f32_e32 v0, v43, v51
	v_sub_f32_e32 v1, v47, v55
	v_add_f32_e32 v25, v0, v1
	v_add_f32_e32 v0, v50, v54
	v_fma_f32 v28, -0.5, v0, v38
	v_sub_f32_e32 v29, v43, v47
	v_mov_b32_e32 v0, v28
	v_fmac_f32_e32 v0, 0x3f737871, v29
	v_sub_f32_e32 v32, v51, v55
	v_fmac_f32_e32 v0, 0x3f167918, v32
	v_fmac_f32_e32 v0, 0x3e9e377a, v21
	v_fma_f32 v6, -0.5, v6, v71
	v_fma_f32 v17, -0.5, v17, v71
	;; [unrolled: 1-line block ×3, first 2 shown]
	v_add_f32_e32 v1, v51, v55
	v_mul_f32_e32 v71, 0x3f4f1bbd, v0
	v_mul_f32_e32 v72, 0xbf167918, v0
	v_add_f32_e32 v0, v38, v42
	v_add_f32_e32 v60, v89, v99
	;; [unrolled: 1-line block ×5, first 2 shown]
	v_add_u32_e32 v101, 0x1c20, v70
	v_fma_f32 v33, -0.5, v1, v39
	v_add_f32_e32 v0, v0, v50
	ds_write2_b64 v101, v[60:61], v[75:76] offset1:1
	v_sub_f32_e32 v60, v42, v46
	v_mov_b32_e32 v1, v33
	v_add_f32_e32 v0, v0, v54
	v_fmac_f32_e32 v1, 0xbf737871, v60
	v_sub_f32_e32 v61, v50, v54
	v_mov_b32_e32 v73, v6
	v_mov_b32_e32 v74, v14
	v_add_f32_e32 v75, v0, v46
	v_add_f32_e32 v0, v39, v43
	v_fmac_f32_e32 v1, 0xbf167918, v61
	v_fmac_f32_e32 v73, 0x3f737871, v16
	;; [unrolled: 1-line block ×3, first 2 shown]
	v_add_f32_e32 v0, v0, v51
	v_add_f32_e32 v10, v10, v3
	v_fmac_f32_e32 v1, 0x3e9e377a, v25
	v_fmac_f32_e32 v73, 0x3f167918, v7
	;; [unrolled: 1-line block ×3, first 2 shown]
	v_add_f32_e32 v0, v0, v55
	v_sub_f32_e32 v5, v5, v13
	v_add_f32_e32 v13, v2, v13
	v_fmac_f32_e32 v71, 0x3f167918, v1
	v_fmac_f32_e32 v72, 0x3f4f1bbd, v1
	;; [unrolled: 1-line block ×4, first 2 shown]
	v_add_f32_e32 v76, v0, v47
	v_add_f32_e32 v0, v12, v75
	;; [unrolled: 1-line block ×5, first 2 shown]
	ds_write2_b64 v70, v[0:1], v[2:3] offset1:1
	v_add_f32_e32 v0, v11, v4
	v_mov_b32_e32 v4, v17
	v_fmac_f32_e32 v4, 0xbf737871, v7
	v_fmac_f32_e32 v17, 0x3f737871, v7
	v_fmac_f32_e32 v4, 0x3f167918, v16
	v_fmac_f32_e32 v17, 0xbf167918, v16
	v_fmac_f32_e32 v4, 0x3e9e377a, v0
	v_fmac_f32_e32 v17, 0x3e9e377a, v0
	v_add_f32_e32 v0, v9, v5
	v_mov_b32_e32 v5, v24
	v_fmac_f32_e32 v5, 0x3f737871, v8
	v_fmac_f32_e32 v24, 0xbf737871, v8
	;; [unrolled: 1-line block ×6, first 2 shown]
	v_sub_f32_e32 v0, v50, v42
	v_sub_f32_e32 v1, v54, v46
	v_add_f32_e32 v0, v0, v1
	v_add_f32_e32 v1, v42, v46
	v_fma_f32 v1, -0.5, v1, v38
	v_mov_b32_e32 v2, v1
	v_fmac_f32_e32 v2, 0xbf737871, v32
	v_fmac_f32_e32 v1, 0x3f737871, v32
	;; [unrolled: 1-line block ×6, first 2 shown]
	v_sub_f32_e32 v0, v51, v43
	v_sub_f32_e32 v3, v55, v47
	v_add_f32_e32 v0, v0, v3
	v_add_f32_e32 v3, v43, v47
	v_fma_f32 v3, -0.5, v3, v39
	v_mov_b32_e32 v9, v3
	v_fmac_f32_e32 v9, 0x3f737871, v61
	v_fmac_f32_e32 v3, 0xbf737871, v61
	;; [unrolled: 1-line block ×6, first 2 shown]
	v_mul_f32_e32 v38, 0xbf737871, v2
	v_mul_f32_e32 v0, 0x3e9e377a, v1
	;; [unrolled: 1-line block ×3, first 2 shown]
	v_fmac_f32_e32 v38, 0x3e9e377a, v9
	v_fma_f32 v9, v3, s6, -v0
	v_mul_f32_e32 v0, 0x3e9e377a, v3
	v_fmac_f32_e32 v28, 0xbf737871, v29
	v_fmac_f32_e32 v11, 0x3e9e377a, v2
	v_fma_f32 v39, v1, s7, -v0
	v_fmac_f32_e32 v28, 0xbf167918, v32
	v_fmac_f32_e32 v33, 0x3f737871, v60
	v_add_f32_e32 v0, v4, v11
	v_add_f32_e32 v1, v5, v38
	;; [unrolled: 1-line block ×4, first 2 shown]
	v_fmac_f32_e32 v28, 0x3e9e377a, v21
	v_fmac_f32_e32 v33, 0x3f167918, v61
	ds_write2_b64 v70, v[0:1], v[2:3] offset0:2 offset1:3
	v_fmac_f32_e32 v6, 0xbf737871, v16
	v_fmac_f32_e32 v14, 0x3f737871, v20
	;; [unrolled: 1-line block ×3, first 2 shown]
	v_mul_f32_e32 v2, 0x3f4f1bbd, v28
	v_fmac_f32_e32 v6, 0xbf167918, v7
	v_fmac_f32_e32 v14, 0x3f167918, v8
	v_fma_f32 v7, v33, s5, -v2
	v_mul_f32_e32 v2, 0x3f4f1bbd, v33
	v_fmac_f32_e32 v6, 0x3e9e377a, v10
	v_fmac_f32_e32 v14, 0x3e9e377a, v15
	v_fma_f32 v8, v28, s4, -v2
	v_sub_f32_e32 v0, v12, v75
	v_sub_f32_e32 v1, v13, v76
	v_add_f32_e32 v2, v6, v7
	v_add_f32_e32 v3, v14, v8
	ds_write2_b64 v70, v[2:3], v[0:1] offset0:4 offset1:5
	v_sub_f32_e32 v0, v73, v71
	v_sub_f32_e32 v1, v74, v72
	v_sub_f32_e32 v2, v4, v11
	v_sub_f32_e32 v3, v5, v38
	ds_write2_b64 v70, v[0:1], v[2:3] offset0:6 offset1:7
	v_sub_f32_e32 v0, v17, v9
	v_sub_f32_e32 v1, v24, v39
	;; [unrolled: 1-line block ×4, first 2 shown]
	ds_write2_b64 v70, v[0:1], v[2:3] offset0:8 offset1:9
	v_sub_f32_e32 v0, v40, v48
	v_sub_f32_e32 v1, v44, v52
	v_add_f32_e32 v3, v0, v1
	v_add_f32_e32 v0, v48, v52
	v_fma_f32 v4, -0.5, v0, v36
	v_sub_f32_e32 v1, v41, v45
	v_mov_b32_e32 v0, v4
	v_fmac_f32_e32 v0, 0x3f737871, v1
	v_sub_f32_e32 v2, v49, v53
	v_fmac_f32_e32 v4, 0xbf737871, v1
	v_fmac_f32_e32 v0, 0x3f167918, v2
	v_fmac_f32_e32 v4, 0xbf167918, v2
	v_fmac_f32_e32 v0, 0x3e9e377a, v3
	v_fmac_f32_e32 v4, 0x3e9e377a, v3
	v_sub_f32_e32 v3, v41, v49
	v_sub_f32_e32 v5, v45, v53
	v_add_f32_e32 v5, v3, v5
	v_add_f32_e32 v3, v49, v53
	v_fma_f32 v20, -0.5, v3, v37
	v_sub_f32_e32 v8, v40, v44
	v_mov_b32_e32 v3, v20
	v_fmac_f32_e32 v3, 0xbf737871, v8
	v_sub_f32_e32 v12, v48, v52
	v_fmac_f32_e32 v20, 0x3f737871, v8
	v_fmac_f32_e32 v3, 0xbf167918, v12
	v_fmac_f32_e32 v20, 0x3f167918, v12
	v_fmac_f32_e32 v3, 0x3e9e377a, v5
	v_fmac_f32_e32 v20, 0x3e9e377a, v5
	v_sub_f32_e32 v5, v18, v22
	v_sub_f32_e32 v6, v30, v34
	v_add_f32_e32 v5, v5, v6
	v_add_f32_e32 v6, v22, v34
	v_fma_f32 v7, -0.5, v6, v26
	v_sub_f32_e32 v9, v19, v31
	v_mov_b32_e32 v6, v7
	v_fmac_f32_e32 v6, 0x3f737871, v9
	v_sub_f32_e32 v13, v23, v35
	v_fmac_f32_e32 v7, 0xbf737871, v9
	v_fmac_f32_e32 v6, 0x3f167918, v13
	v_fmac_f32_e32 v7, 0xbf167918, v13
	v_fmac_f32_e32 v6, 0x3e9e377a, v5
	v_fmac_f32_e32 v7, 0x3e9e377a, v5
	v_sub_f32_e32 v5, v19, v23
	v_sub_f32_e32 v10, v31, v35
	v_add_f32_e32 v5, v5, v10
	v_add_f32_e32 v10, v23, v35
	v_fma_f32 v10, -0.5, v10, v27
	v_sub_f32_e32 v15, v18, v30
	v_mov_b32_e32 v11, v10
	v_fmac_f32_e32 v11, 0xbf737871, v15
	v_sub_f32_e32 v17, v22, v34
	v_fmac_f32_e32 v10, 0x3f737871, v15
	v_fmac_f32_e32 v11, 0xbf167918, v17
	v_fmac_f32_e32 v10, 0x3f167918, v17
	v_fmac_f32_e32 v11, 0x3e9e377a, v5
	v_fmac_f32_e32 v10, 0x3e9e377a, v5
	v_mul_f32_e32 v5, 0x3f4f1bbd, v6
	v_mul_f32_e32 v6, 0xbf167918, v6
	v_fmac_f32_e32 v5, 0x3f167918, v11
	v_fmac_f32_e32 v6, 0x3f4f1bbd, v11
	v_mul_f32_e32 v11, 0x3f4f1bbd, v7
	v_fma_f32 v16, v10, s5, -v11
	v_mul_f32_e32 v10, 0x3f4f1bbd, v10
	v_fma_f32 v21, v7, s4, -v10
	v_add_f32_e32 v7, v36, v40
	v_add_f32_e32 v10, v37, v41
	v_add_f32_e32 v11, v26, v18
	v_add_f32_e32 v14, v27, v19
	v_add_f32_e32 v7, v7, v48
	v_add_f32_e32 v10, v10, v49
	v_add_f32_e32 v11, v11, v22
	v_add_f32_e32 v14, v14, v23
	v_add_f32_e32 v7, v7, v52
	v_add_f32_e32 v10, v10, v53
	v_add_f32_e32 v11, v11, v34
	v_add_f32_e32 v14, v14, v35
	v_add_f32_e32 v7, v7, v44
	v_add_f32_e32 v10, v10, v45
	v_add_f32_e32 v11, v11, v30
	v_add_f32_e32 v14, v14, v31
	v_add_f32_e32 v54, v4, v16
	v_add_f32_e32 v55, v20, v21
	v_sub_f32_e32 v60, v7, v11
	v_sub_f32_e32 v61, v10, v14
	v_sub_f32_e32 v50, v0, v5
	v_sub_f32_e32 v51, v3, v6
	s_and_saveexec_b64 s[4:5], s[2:3]
	s_cbranch_execz .LBB0_21
; %bb.20:
	v_sub_f32_e32 v20, v20, v21
	v_sub_f32_e32 v21, v49, v41
	;; [unrolled: 1-line block ×3, first 2 shown]
	v_add_f32_e32 v21, v21, v24
	v_add_f32_e32 v24, v41, v45
	v_fma_f32 v24, -0.5, v24, v37
	v_sub_f32_e32 v22, v22, v18
	v_add_f32_e32 v18, v18, v30
	v_mov_b32_e32 v25, v24
	v_fma_f32 v26, -0.5, v18, v26
	v_sub_f32_e32 v18, v23, v19
	v_sub_f32_e32 v23, v35, v31
	v_fmac_f32_e32 v25, 0xbf737871, v12
	v_add_f32_e32 v23, v18, v23
	v_add_f32_e32 v18, v19, v31
	v_fmac_f32_e32 v24, 0x3f737871, v12
	v_fmac_f32_e32 v25, 0x3f167918, v8
	v_sub_f32_e32 v28, v34, v30
	v_fmac_f32_e32 v27, -0.5, v18
	v_fmac_f32_e32 v24, 0xbf167918, v8
	v_sub_f32_e32 v19, v4, v16
	v_sub_f32_e32 v4, v48, v40
	;; [unrolled: 1-line block ×3, first 2 shown]
	v_add_f32_e32 v22, v22, v28
	v_mov_b32_e32 v28, v26
	v_mov_b32_e32 v29, v27
	v_fmac_f32_e32 v26, 0xbf737871, v13
	v_add_f32_e32 v4, v4, v8
	v_add_f32_e32 v8, v40, v44
	v_fmac_f32_e32 v28, 0x3f737871, v13
	v_fmac_f32_e32 v29, 0xbf737871, v17
	;; [unrolled: 1-line block ×4, first 2 shown]
	v_fmac_f32_e32 v36, -0.5, v8
	v_fmac_f32_e32 v28, 0xbf167918, v9
	v_fmac_f32_e32 v29, 0x3f167918, v15
	;; [unrolled: 1-line block ×4, first 2 shown]
	v_mov_b32_e32 v13, v36
	v_fmac_f32_e32 v28, 0x3e9e377a, v22
	v_fmac_f32_e32 v29, 0x3e9e377a, v23
	;; [unrolled: 1-line block ×3, first 2 shown]
	v_mul_f32_e32 v12, 0xbf737871, v26
	v_fmac_f32_e32 v13, 0x3f737871, v2
	v_fmac_f32_e32 v36, 0xbf737871, v2
	v_mul_f32_e32 v18, 0x3e9e377a, v29
	v_fmac_f32_e32 v24, 0x3e9e377a, v21
	v_fmac_f32_e32 v12, 0x3e9e377a, v27
	;; [unrolled: 1-line block ×3, first 2 shown]
	v_mul_f32_e32 v8, 0x3e9e377a, v28
	v_fmac_f32_e32 v36, 0x3f167918, v1
	v_mul_f32_e32 v16, 0x3f737871, v27
	v_fmac_f32_e32 v25, 0x3e9e377a, v21
	v_fma_f32 v30, v28, s7, -v18
	v_sub_f32_e32 v9, v24, v12
	v_fmac_f32_e32 v13, 0x3e9e377a, v4
	v_fma_f32 v15, v29, s6, -v8
	v_fmac_f32_e32 v36, 0x3e9e377a, v4
	v_fmac_f32_e32 v16, 0x3e9e377a, v26
	v_add_f32_e32 v4, v24, v12
	v_add_f32_e32 v6, v3, v6
	;; [unrolled: 1-line block ×5, first 2 shown]
	v_add_u32_e32 v0, 0x3840, v70
	v_add_f32_e32 v2, v25, v30
	v_add_f32_e32 v1, v13, v15
	v_add_f32_e32 v3, v36, v16
	ds_write2_b64 v0, v[11:12], v[5:6] offset1:1
	v_add_u32_e32 v0, 0x3850, v70
	ds_write2_b64 v0, v[3:4], v[1:2] offset1:1
	v_add_u32_e32 v0, 0x3860, v70
	v_sub_f32_e32 v8, v36, v16
	ds_write2_b64 v0, v[54:55], v[60:61] offset1:1
	v_add_u32_e32 v0, 0x3870, v70
	v_sub_f32_e32 v18, v25, v30
	v_sub_f32_e32 v17, v13, v15
	ds_write2_b64 v0, v[50:51], v[8:9] offset1:1
	v_add_u32_e32 v0, 0x3880, v70
	ds_write2_b64 v0, v[17:18], v[19:20] offset1:1
.LBB0_21:
	s_or_b64 exec, exec, s[4:5]
	v_add_u32_e32 v0, 0x400, v62
	s_waitcnt lgkmcnt(0)
	s_barrier
	ds_read2_b64 v[12:15], v62 offset1:90
	ds_read2_b64 v[44:47], v66 offset0:110 offset1:200
	ds_read2_b64 v[40:43], v69 offset0:92 offset1:182
	;; [unrolled: 1-line block ×8, first 2 shown]
	v_add_u32_e32 v0, 0x1000, v62
	v_add_u32_e32 v20, 0x3c00, v62
	ds_read2_b64 v[0:3], v0 offset0:28 offset1:118
	ds_read2_b64 v[16:19], v57 offset0:10 offset1:100
	;; [unrolled: 1-line block ×3, first 2 shown]
	v_cmp_gt_u32_e32 vcc, 30, v56
	s_and_saveexec_b64 s[2:3], vcc
	s_cbranch_execz .LBB0_23
; %bb.22:
	ds_read_b64 v[54:55], v62 offset:5760
	ds_read_b64 v[60:61], v62 offset:11760
	;; [unrolled: 1-line block ×3, first 2 shown]
.LBB0_23:
	s_or_b64 exec, exec, s[2:3]
	s_movk_i32 s2, 0xcd
	v_mul_lo_u16_sdwa v48, v56, s2 dst_sel:DWORD dst_unused:UNUSED_PAD src0_sel:BYTE_0 src1_sel:DWORD
	v_lshrrev_b16_e32 v106, 11, v48
	v_add_u32_e32 v64, 0x5a, v56
	v_mul_lo_u16_e32 v48, 10, v106
	v_sub_u16_e32 v107, v56, v48
	v_mov_b32_e32 v48, 4
	v_mul_lo_u16_sdwa v52, v64, s2 dst_sel:DWORD dst_unused:UNUSED_PAD src0_sel:BYTE_0 src1_sel:DWORD
	v_lshlrev_b32_sdwa v49, v48, v107 dst_sel:DWORD dst_unused:UNUSED_PAD src0_sel:DWORD src1_sel:BYTE_0
	v_lshrrev_b16_e32 v108, 11, v52
	global_load_dwordx4 v[70:73], v49, s[8:9]
	v_mul_lo_u16_e32 v49, 10, v108
	v_sub_u16_e32 v109, v64, v49
	v_lshlrev_b32_sdwa v48, v48, v109 dst_sel:DWORD dst_unused:UNUSED_PAD src0_sel:DWORD src1_sel:BYTE_0
	v_add_u32_e32 v65, 0xb4, v56
	s_mov_b32 s2, 0xcccd
	global_load_dwordx4 v[74:77], v48, s[8:9]
	v_mul_u32_u24_sdwa v48, v65, s2 dst_sel:DWORD dst_unused:UNUSED_PAD src0_sel:WORD_0 src1_sel:DWORD
	v_lshrrev_b32_e32 v110, 19, v48
	v_mul_lo_u16_e32 v48, 10, v110
	v_sub_u16_e32 v111, v65, v48
	v_lshlrev_b32_e32 v48, 4, v111
	v_add_u32_e32 v63, 0x10e, v56
	global_load_dwordx4 v[78:81], v48, s[8:9]
	v_mul_u32_u24_sdwa v48, v63, s2 dst_sel:DWORD dst_unused:UNUSED_PAD src0_sel:WORD_0 src1_sel:DWORD
	v_lshrrev_b32_e32 v112, 19, v48
	v_mul_lo_u16_e32 v48, 10, v112
	v_sub_u16_e32 v113, v63, v48
	v_lshlrev_b32_e32 v48, 4, v113
	v_add_u32_e32 v57, 0x168, v56
	;; [unrolled: 7-line block ×5, first 2 shown]
	global_load_dwordx4 v[94:97], v48, s[8:9]
	v_mul_u32_u24_sdwa v48, v69, s2 dst_sel:DWORD dst_unused:UNUSED_PAD src0_sel:WORD_0 src1_sel:DWORD
	v_lshrrev_b32_e32 v120, 19, v48
	v_mul_lo_u16_e32 v48, 10, v120
	v_sub_u16_e32 v121, v69, v48
	v_lshlrev_b32_e32 v48, 4, v121
	global_load_dwordx4 v[98:101], v48, s[8:9]
	v_add_u32_e32 v66, 0x2d0, v56
	v_mul_u32_u24_sdwa v48, v66, s2 dst_sel:DWORD dst_unused:UNUSED_PAD src0_sel:WORD_0 src1_sel:DWORD
	v_lshrrev_b32_e32 v52, 19, v48
	v_mul_lo_u16_e32 v48, 10, v52
	v_sub_u16_e32 v53, v66, v48
	v_lshlrev_b32_e32 v48, 4, v53
	global_load_dwordx4 v[102:105], v48, s[8:9]
	s_waitcnt vmcnt(0) lgkmcnt(0)
	s_barrier
	v_mul_f32_e32 v48, v71, v45
	v_mul_f32_e32 v49, v71, v44
	;; [unrolled: 1-line block ×4, first 2 shown]
	v_fma_f32 v40, v72, v40, -v71
	v_fma_f32 v44, v70, v44, -v48
	v_mul_f32_e32 v122, v75, v47
	v_mul_f32_e32 v75, v75, v46
	v_fmac_f32_e32 v49, v70, v45
	v_fmac_f32_e32 v75, v74, v47
	v_mul_f32_e32 v45, v77, v42
	v_fmac_f32_e32 v73, v72, v41
	v_mul_f32_e32 v41, v77, v43
	v_mul_f32_e32 v71, v81, v32
	;; [unrolled: 1-line block ×4, first 2 shown]
	v_fmac_f32_e32 v71, v80, v33
	v_mul_f32_e32 v48, v79, v37
	v_fmac_f32_e32 v70, v78, v37
	v_fmac_f32_e32 v45, v76, v43
	v_mul_f32_e32 v33, v83, v39
	v_fma_f32 v37, v82, v38, -v33
	v_mul_f32_e32 v38, v83, v38
	v_mul_f32_e32 v33, v35, v85
	v_fmac_f32_e32 v38, v82, v39
	v_fma_f32 v39, v34, v84, -v33
	v_fma_f32 v32, v80, v32, -v47
	v_mul_f32_e32 v33, v29, v87
	v_fma_f32 v43, v28, v86, -v33
	v_mul_f32_e32 v47, v28, v87
	v_mul_f32_e32 v28, v25, v89
	v_fma_f32 v36, v78, v36, -v48
	v_fma_f32 v48, v24, v88, -v28
	v_mul_f32_e32 v72, v24, v89
	v_mul_f32_e32 v24, v31, v91
	v_fma_f32 v46, v74, v46, -v122
	v_fma_f32 v74, v30, v90, -v24
	v_mul_f32_e32 v24, v27, v93
	v_fma_f32 v77, v26, v92, -v24
	v_fma_f32 v41, v76, v42, -v41
	v_mul_f32_e32 v42, v34, v85
	v_mul_f32_e32 v24, v17, v95
	v_fma_f32 v78, v16, v94, -v24
	v_mul_f32_e32 v79, v16, v95
	v_mul_f32_e32 v16, v21, v97
	;; [unrolled: 1-line block ×3, first 2 shown]
	v_fma_f32 v80, v20, v96, -v16
	v_fmac_f32_e32 v81, v21, v96
	v_mul_f32_e32 v16, v19, v99
	v_add_f32_e32 v21, v44, v40
	v_fma_f32 v82, v18, v98, -v16
	v_mul_f32_e32 v16, v23, v101
	v_mul_f32_e32 v85, v22, v101
	v_add_f32_e32 v20, v12, v44
	v_fma_f32 v12, -0.5, v21, v12
	v_fmac_f32_e32 v42, v35, v84
	v_fma_f32 v84, v22, v100, -v16
	v_fmac_f32_e32 v85, v23, v100
	v_sub_f32_e32 v21, v49, v73
	v_mov_b32_e32 v22, v12
	v_add_f32_e32 v23, v49, v73
	v_fmac_f32_e32 v22, 0x3f5db3d7, v21
	v_fmac_f32_e32 v12, 0xbf5db3d7, v21
	v_add_f32_e32 v21, v13, v49
	v_fma_f32 v13, -0.5, v23, v13
	v_fmac_f32_e32 v72, v25, v88
	v_sub_f32_e32 v24, v44, v40
	v_mov_b32_e32 v23, v13
	v_add_f32_e32 v25, v46, v41
	v_mul_f32_e32 v26, v26, v93
	v_fmac_f32_e32 v23, 0xbf5db3d7, v24
	v_fmac_f32_e32 v13, 0x3f5db3d7, v24
	v_add_f32_e32 v24, v14, v46
	v_fma_f32 v14, -0.5, v25, v14
	v_fmac_f32_e32 v26, v27, v92
	v_sub_f32_e32 v25, v75, v45
	v_mov_b32_e32 v27, v14
	v_add_f32_e32 v28, v75, v45
	v_fmac_f32_e32 v27, 0x3f5db3d7, v25
	v_fmac_f32_e32 v14, 0xbf5db3d7, v25
	v_add_f32_e32 v25, v15, v75
	v_fmac_f32_e32 v15, -0.5, v28
	v_fmac_f32_e32 v47, v29, v86
	v_mul_f32_e32 v76, v30, v91
	v_sub_f32_e32 v29, v46, v41
	v_mov_b32_e32 v28, v15
	v_add_f32_e32 v30, v36, v32
	v_fmac_f32_e32 v28, 0xbf5db3d7, v29
	v_fmac_f32_e32 v15, 0x3f5db3d7, v29
	v_add_f32_e32 v29, v8, v36
	v_fma_f32 v8, -0.5, v30, v8
	v_fmac_f32_e32 v76, v31, v90
	v_sub_f32_e32 v30, v70, v71
	v_mov_b32_e32 v31, v8
	v_add_f32_e32 v33, v70, v71
	v_fmac_f32_e32 v31, 0x3f5db3d7, v30
	v_fmac_f32_e32 v8, 0xbf5db3d7, v30
	v_add_f32_e32 v30, v9, v70
	v_fma_f32 v9, -0.5, v33, v9
	v_add_f32_e32 v29, v29, v32
	v_sub_f32_e32 v33, v36, v32
	v_mov_b32_e32 v32, v9
	v_add_f32_e32 v34, v37, v39
	v_fmac_f32_e32 v32, 0xbf5db3d7, v33
	v_fmac_f32_e32 v9, 0x3f5db3d7, v33
	v_add_f32_e32 v33, v10, v37
	v_fma_f32 v10, -0.5, v34, v10
	v_sub_f32_e32 v34, v38, v42
	v_mov_b32_e32 v35, v10
	v_add_f32_e32 v36, v38, v42
	v_fmac_f32_e32 v35, 0x3f5db3d7, v34
	v_fmac_f32_e32 v10, 0xbf5db3d7, v34
	v_add_f32_e32 v34, v11, v38
	v_fmac_f32_e32 v11, -0.5, v36
	v_sub_f32_e32 v37, v37, v39
	v_mov_b32_e32 v36, v11
	v_add_f32_e32 v38, v43, v48
	v_fmac_f32_e32 v36, 0xbf5db3d7, v37
	v_fmac_f32_e32 v11, 0x3f5db3d7, v37
	v_add_f32_e32 v37, v4, v43
	v_fma_f32 v4, -0.5, v38, v4
	v_add_f32_e32 v20, v20, v40
	v_add_f32_e32 v33, v33, v39
	v_sub_f32_e32 v38, v47, v72
	v_mov_b32_e32 v39, v4
	v_add_f32_e32 v40, v47, v72
	v_fmac_f32_e32 v39, 0x3f5db3d7, v38
	v_fmac_f32_e32 v4, 0xbf5db3d7, v38
	v_add_f32_e32 v38, v5, v47
	v_fma_f32 v5, -0.5, v40, v5
	v_add_f32_e32 v24, v24, v41
	v_add_f32_e32 v34, v34, v42
	v_sub_f32_e32 v41, v43, v48
	v_mov_b32_e32 v40, v5
	v_add_f32_e32 v42, v74, v77
	v_fmac_f32_e32 v40, 0xbf5db3d7, v41
	v_fmac_f32_e32 v5, 0x3f5db3d7, v41
	v_add_f32_e32 v41, v6, v74
	v_fma_f32 v6, -0.5, v42, v6
	v_sub_f32_e32 v42, v76, v26
	v_mov_b32_e32 v43, v6
	v_fmac_f32_e32 v43, 0x3f5db3d7, v42
	v_fmac_f32_e32 v6, 0xbf5db3d7, v42
	v_add_f32_e32 v42, v7, v76
	v_add_f32_e32 v42, v42, v26
	v_add_f32_e32 v26, v76, v26
	v_fmac_f32_e32 v7, -0.5, v26
	v_sub_f32_e32 v26, v74, v77
	v_mov_b32_e32 v44, v7
	v_fmac_f32_e32 v44, 0xbf5db3d7, v26
	v_fmac_f32_e32 v7, 0x3f5db3d7, v26
	v_add_f32_e32 v26, v0, v78
	v_add_f32_e32 v25, v25, v45
	v_add_f32_e32 v45, v26, v80
	v_add_f32_e32 v26, v78, v80
	v_fmac_f32_e32 v79, v17, v94
	v_mul_f32_e32 v16, v61, v103
	v_fma_f32 v0, -0.5, v26, v0
	v_fma_f32 v16, v60, v102, -v16
	v_mul_f32_e32 v17, v60, v103
	v_sub_f32_e32 v26, v79, v81
	v_mov_b32_e32 v60, v0
	v_fmac_f32_e32 v60, 0x3f5db3d7, v26
	v_fmac_f32_e32 v0, 0xbf5db3d7, v26
	v_add_f32_e32 v26, v1, v79
	v_add_f32_e32 v46, v26, v81
	;; [unrolled: 1-line block ×3, first 2 shown]
	v_fma_f32 v1, -0.5, v26, v1
	v_fmac_f32_e32 v17, v61, v102
	v_sub_f32_e32 v26, v78, v80
	v_mov_b32_e32 v61, v1
	v_fmac_f32_e32 v61, 0xbf5db3d7, v26
	v_fmac_f32_e32 v1, 0x3f5db3d7, v26
	v_add_f32_e32 v26, v2, v82
	v_mul_f32_e32 v83, v18, v99
	v_add_f32_e32 v70, v26, v84
	v_add_f32_e32 v26, v82, v84
	v_fmac_f32_e32 v83, v19, v98
	v_fma_f32 v2, -0.5, v26, v2
	v_add_f32_e32 v38, v38, v72
	v_sub_f32_e32 v26, v83, v85
	v_mov_b32_e32 v72, v2
	v_fmac_f32_e32 v72, 0x3f5db3d7, v26
	v_fmac_f32_e32 v2, 0xbf5db3d7, v26
	v_add_f32_e32 v26, v3, v83
	v_add_f32_e32 v30, v30, v71
	;; [unrolled: 1-line block ×4, first 2 shown]
	v_mul_f32_e32 v18, v51, v105
	v_fmac_f32_e32 v3, -0.5, v26
	v_fma_f32 v18, v50, v104, -v18
	v_add_f32_e32 v21, v21, v73
	v_sub_f32_e32 v26, v82, v84
	v_mov_b32_e32 v73, v3
	v_mul_f32_e32 v19, v50, v105
	v_fmac_f32_e32 v73, 0xbf5db3d7, v26
	v_fmac_f32_e32 v3, 0x3f5db3d7, v26
	v_add_f32_e32 v26, v16, v18
	v_fmac_f32_e32 v19, v51, v104
	v_add_f32_e32 v37, v37, v48
	v_fma_f32 v48, -0.5, v26, v54
	v_sub_f32_e32 v26, v17, v19
	v_mov_b32_e32 v50, v48
	v_fmac_f32_e32 v50, 0x3f5db3d7, v26
	v_fmac_f32_e32 v48, 0xbf5db3d7, v26
	v_add_f32_e32 v26, v17, v19
	v_fma_f32 v49, -0.5, v26, v55
	v_sub_f32_e32 v26, v16, v18
	v_mov_b32_e32 v51, v49
	v_fmac_f32_e32 v51, 0xbf5db3d7, v26
	v_fmac_f32_e32 v49, 0x3f5db3d7, v26
	v_mov_b32_e32 v26, 3
	v_mul_u32_u24_e32 v47, 0xf0, v106
	v_lshlrev_b32_sdwa v74, v26, v107 dst_sel:DWORD dst_unused:UNUSED_PAD src0_sel:DWORD src1_sel:BYTE_0
	v_add3_u32 v47, 0, v47, v74
	ds_write2_b64 v47, v[20:21], v[22:23] offset1:10
	ds_write_b64 v47, v[12:13] offset:160
	v_mul_u32_u24_e32 v12, 0xf0, v108
	v_lshlrev_b32_sdwa v13, v26, v109 dst_sel:DWORD dst_unused:UNUSED_PAD src0_sel:DWORD src1_sel:BYTE_0
	v_add3_u32 v12, 0, v12, v13
	ds_write2_b64 v12, v[24:25], v[27:28] offset1:10
	ds_write_b64 v12, v[14:15] offset:160
	v_mul_u32_u24_e32 v12, 0xf0, v110
	v_lshlrev_b32_e32 v13, 3, v111
	v_add3_u32 v12, 0, v12, v13
	ds_write2_b64 v12, v[29:30], v[31:32] offset1:10
	ds_write_b64 v12, v[8:9] offset:160
	v_mul_u32_u24_e32 v8, 0xf0, v112
	v_lshlrev_b32_e32 v9, 3, v113
	;; [unrolled: 5-line block ×4, first 2 shown]
	v_add_f32_e32 v41, v41, v77
	v_add3_u32 v4, 0, v4, v5
	ds_write2_b64 v4, v[41:42], v[43:44] offset1:10
	ds_write_b64 v4, v[6:7] offset:160
	v_mul_u32_u24_e32 v4, 0xf0, v118
	v_lshlrev_b32_e32 v5, 3, v119
	v_add3_u32 v4, 0, v4, v5
	ds_write2_b64 v4, v[45:46], v[60:61] offset1:10
	ds_write_b64 v4, v[0:1] offset:160
	v_mul_u32_u24_e32 v0, 0xf0, v120
	v_lshlrev_b32_e32 v1, 3, v121
	v_add3_u32 v0, 0, v0, v1
	ds_write2_b64 v0, v[70:71], v[72:73] offset1:10
	ds_write_b64 v0, v[2:3] offset:160
	s_and_saveexec_b64 s[2:3], vcc
	s_cbranch_execz .LBB0_25
; %bb.24:
	v_add_f32_e32 v0, v55, v17
	v_mul_lo_u16_e32 v2, 30, v52
	v_add_f32_e32 v1, v0, v19
	v_add_f32_e32 v0, v54, v16
	v_lshlrev_b32_e32 v3, 3, v53
	v_lshlrev_b32_e32 v2, 3, v2
	v_add_f32_e32 v0, v0, v18
	v_add3_u32 v2, 0, v3, v2
	ds_write2_b64 v2, v[0:1], v[50:51] offset1:10
	ds_write_b64 v2, v[48:49] offset:160
.LBB0_25:
	s_or_b64 exec, exec, s[2:3]
	s_movk_i32 s2, 0x89
	v_mul_lo_u16_sdwa v33, v56, s2 dst_sel:DWORD dst_unused:UNUSED_PAD src0_sel:BYTE_0 src1_sel:DWORD
	v_lshrrev_b16_e32 v33, 12, v33
	v_mul_lo_u16_e32 v34, 30, v33
	v_sub_u16_e32 v34, v56, v34
	v_mov_b32_e32 v47, 5
	v_add_u32_e32 v27, 0x800, v62
	v_add_u32_e32 v28, 0x1800, v62
	;; [unrolled: 1-line block ×11, first 2 shown]
	v_lshlrev_b32_sdwa v52, v47, v34 dst_sel:DWORD dst_unused:UNUSED_PAD src0_sel:DWORD src1_sel:BYTE_0
	s_waitcnt lgkmcnt(0)
	s_barrier
	ds_read2_b64 v[8:11], v62 offset1:90
	ds_read2_b64 v[0:3], v27 offset0:104 offset1:194
	ds_read2_b64 v[35:38], v28 offset0:132 offset1:222
	;; [unrolled: 1-line block ×11, first 2 shown]
	ds_read_b64 v[24:25], v62 offset:17280
	global_load_dwordx4 v[43:46], v52, s[8:9] offset:176
	global_load_dwordx4 v[70:73], v52, s[8:9] offset:160
	v_mul_u32_u24_e32 v33, 0x4b0, v33
	v_lshlrev_b32_sdwa v34, v26, v34 dst_sel:DWORD dst_unused:UNUSED_PAD src0_sel:DWORD src1_sel:BYTE_0
	v_add3_u32 v33, 0, v33, v34
	s_waitcnt vmcnt(1) lgkmcnt(9)
	v_mul_f32_e32 v99, v14, v44
	s_waitcnt vmcnt(0)
	v_mul_f32_e32 v52, v71, v3
	v_fma_f32 v95, v70, v2, -v52
	v_mul_f32_e32 v74, v71, v2
	v_mul_f32_e32 v2, v73, v36
	v_fma_f32 v96, v72, v35, -v2
	v_mul_f32_e32 v2, v15, v44
	v_fma_f32 v98, v14, v43, -v2
	s_waitcnt lgkmcnt(8)
	v_mul_f32_e32 v2, v40, v46
	v_fma_f32 v100, v39, v45, -v2
	v_mul_lo_u16_sdwa v2, v64, s2 dst_sel:DWORD dst_unused:UNUSED_PAD src0_sel:BYTE_0 src1_sel:DWORD
	v_lshrrev_b16_e32 v2, 12, v2
	v_fmac_f32_e32 v74, v70, v3
	v_mul_lo_u16_e32 v3, 30, v2
	v_sub_u16_e32 v3, v64, v3
	v_mul_f32_e32 v97, v73, v35
	v_lshlrev_b32_sdwa v14, v47, v3 dst_sel:DWORD dst_unused:UNUSED_PAD src0_sel:DWORD src1_sel:BYTE_0
	v_fmac_f32_e32 v97, v72, v36
	global_load_dwordx4 v[91:94], v14, s[8:9] offset:176
	global_load_dwordx4 v[70:73], v14, s[8:9] offset:160
	s_mov_b32 s2, 0x8889
	v_fmac_f32_e32 v99, v15, v43
	v_mul_f32_e32 v101, v39, v46
	v_fmac_f32_e32 v101, v40, v45
	v_mul_u32_u24_e32 v2, 0x4b0, v2
	v_lshlrev_b32_sdwa v3, v26, v3 dst_sel:DWORD dst_unused:UNUSED_PAD src0_sel:DWORD src1_sel:BYTE_0
	v_add3_u32 v2, 0, v2, v3
	s_waitcnt vmcnt(1) lgkmcnt(6)
	v_mul_f32_e32 v53, v79, v92
	s_waitcnt vmcnt(0)
	v_mul_f32_e32 v14, v76, v71
	v_fma_f32 v102, v75, v70, -v14
	v_mul_f32_e32 v14, v38, v73
	v_fma_f32 v103, v37, v72, -v14
	;; [unrolled: 2-line block ×3, first 2 shown]
	v_mul_f32_e32 v14, v42, v94
	v_fmac_f32_e32 v53, v80, v91
	v_fma_f32 v91, v41, v93, -v14
	v_mul_u32_u24_sdwa v14, v65, s2 dst_sel:DWORD dst_unused:UNUSED_PAD src0_sel:WORD_0 src1_sel:DWORD
	v_lshrrev_b32_e32 v14, 20, v14
	v_mul_lo_u16_e32 v15, 30, v14
	v_mul_f32_e32 v52, v37, v73
	v_sub_u16_e32 v15, v65, v15
	v_fmac_f32_e32 v52, v38, v72
	v_mul_f32_e32 v72, v41, v94
	v_lshlrev_b32_e32 v39, 5, v15
	v_fmac_f32_e32 v72, v42, v93
	global_load_dwordx4 v[35:38], v39, s[8:9] offset:176
	global_load_dwordx4 v[40:43], v39, s[8:9] offset:160
	v_mul_f32_e32 v46, v75, v71
	v_fmac_f32_e32 v46, v76, v70
	v_lshlrev_b32_e32 v3, 3, v15
	s_waitcnt vmcnt(1) lgkmcnt(3)
	v_mul_f32_e32 v45, v87, v38
	s_waitcnt vmcnt(0)
	v_mul_f32_e32 v39, v78, v41
	v_fma_f32 v70, v77, v40, -v39
	v_mul_f32_e32 v39, v77, v41
	v_fmac_f32_e32 v39, v78, v40
	v_mul_f32_e32 v40, v84, v43
	v_fma_f32 v71, v83, v42, -v40
	v_mul_f32_e32 v40, v83, v43
	v_mul_f32_e32 v41, v82, v36
	;; [unrolled: 1-line block ×3, first 2 shown]
	v_fma_f32 v73, v81, v35, -v41
	v_fmac_f32_e32 v43, v82, v35
	v_mul_f32_e32 v35, v88, v38
	v_fma_f32 v92, v87, v37, -v35
	v_mul_u32_u24_sdwa v35, v63, s2 dst_sel:DWORD dst_unused:UNUSED_PAD src0_sel:WORD_0 src1_sel:DWORD
	v_lshrrev_b32_e32 v35, 20, v35
	v_mul_lo_u16_e32 v36, 30, v35
	v_sub_u16_e32 v36, v63, v36
	v_fmac_f32_e32 v45, v88, v37
	v_lshlrev_b32_e32 v37, 5, v36
	global_load_dwordx4 v[75:78], v37, s[8:9] offset:176
	global_load_dwordx4 v[79:82], v37, s[8:9] offset:160
	v_fmac_f32_e32 v40, v84, v42
	v_sub_f32_e32 v84, v72, v53
	s_waitcnt vmcnt(1)
	v_mul_f32_e32 v38, v89, v78
	s_waitcnt vmcnt(0) lgkmcnt(2)
	v_mul_f32_e32 v37, v21, v80
	v_fma_f32 v41, v20, v79, -v37
	s_waitcnt lgkmcnt(1)
	v_mul_f32_e32 v37, v17, v76
	v_fma_f32 v44, v16, v75, -v37
	v_mul_f32_e32 v37, v16, v76
	v_mul_f32_e32 v16, v90, v78
	v_fma_f32 v47, v89, v77, -v16
	v_mul_u32_u24_sdwa v16, v57, s2 dst_sel:DWORD dst_unused:UNUSED_PAD src0_sel:WORD_0 src1_sel:DWORD
	v_lshrrev_b32_e32 v16, 20, v16
	v_mul_f32_e32 v20, v20, v80
	v_fmac_f32_e32 v37, v17, v75
	v_mul_lo_u16_e32 v17, 30, v16
	v_fmac_f32_e32 v20, v21, v79
	v_mul_f32_e32 v21, v86, v82
	v_sub_u16_e32 v17, v57, v17
	v_fma_f32 v42, v85, v81, -v21
	v_mul_f32_e32 v21, v85, v82
	v_lshlrev_b32_e32 v83, 5, v17
	v_fmac_f32_e32 v21, v86, v81
	v_fmac_f32_e32 v38, v90, v77
	global_load_dwordx4 v[75:78], v83, s[8:9] offset:176
	global_load_dwordx4 v[79:82], v83, s[8:9] offset:160
	s_waitcnt vmcnt(0) lgkmcnt(0)
	s_barrier
	v_mul_f32_e32 v105, v18, v76
	v_mul_f32_e32 v83, v23, v80
	v_fma_f32 v88, v22, v79, -v83
	v_mul_f32_e32 v89, v22, v80
	v_mul_f32_e32 v22, v13, v82
	;; [unrolled: 1-line block ×3, first 2 shown]
	v_fma_f32 v90, v12, v81, -v22
	v_fmac_f32_e32 v93, v13, v81
	v_mul_f32_e32 v12, v19, v76
	v_add_f32_e32 v13, v96, v98
	v_fma_f32 v94, v18, v75, -v12
	v_fma_f32 v18, -0.5, v13, v8
	v_mul_f32_e32 v12, v25, v78
	v_sub_f32_e32 v13, v74, v101
	v_mov_b32_e32 v22, v18
	v_fmac_f32_e32 v89, v23, v79
	v_fmac_f32_e32 v105, v19, v75
	v_fma_f32 v106, v24, v77, -v12
	v_mul_f32_e32 v107, v24, v78
	v_fmac_f32_e32 v22, 0x3f737871, v13
	v_sub_f32_e32 v19, v97, v99
	v_sub_f32_e32 v23, v95, v96
	v_sub_f32_e32 v24, v100, v98
	v_fmac_f32_e32 v18, 0xbf737871, v13
	v_fmac_f32_e32 v22, 0x3f167918, v19
	v_add_f32_e32 v23, v23, v24
	v_fmac_f32_e32 v18, 0xbf167918, v19
	v_fmac_f32_e32 v22, 0x3e9e377a, v23
	;; [unrolled: 1-line block ×3, first 2 shown]
	v_add_f32_e32 v23, v95, v100
	v_add_f32_e32 v12, v8, v95
	v_fma_f32 v8, -0.5, v23, v8
	v_mov_b32_e32 v24, v8
	v_fmac_f32_e32 v107, v25, v77
	v_fmac_f32_e32 v24, 0xbf737871, v19
	v_sub_f32_e32 v23, v96, v95
	v_sub_f32_e32 v25, v98, v100
	v_fmac_f32_e32 v8, 0x3f737871, v19
	v_add_f32_e32 v19, v97, v99
	v_fmac_f32_e32 v24, 0x3f167918, v13
	v_add_f32_e32 v23, v23, v25
	v_fmac_f32_e32 v8, 0xbf167918, v13
	v_fma_f32 v19, -0.5, v19, v9
	v_fmac_f32_e32 v24, 0x3e9e377a, v23
	v_fmac_f32_e32 v8, 0x3e9e377a, v23
	v_sub_f32_e32 v75, v95, v100
	v_mov_b32_e32 v23, v19
	v_fmac_f32_e32 v23, 0xbf737871, v75
	v_sub_f32_e32 v76, v96, v98
	v_sub_f32_e32 v25, v74, v97
	v_sub_f32_e32 v77, v101, v99
	v_fmac_f32_e32 v19, 0x3f737871, v75
	v_fmac_f32_e32 v23, 0xbf167918, v76
	v_add_f32_e32 v25, v25, v77
	v_fmac_f32_e32 v19, 0x3f167918, v76
	v_fmac_f32_e32 v23, 0x3e9e377a, v25
	;; [unrolled: 1-line block ×3, first 2 shown]
	v_add_f32_e32 v25, v74, v101
	v_add_f32_e32 v13, v9, v74
	v_fma_f32 v9, -0.5, v25, v9
	v_mov_b32_e32 v25, v9
	v_fmac_f32_e32 v25, 0x3f737871, v76
	v_fmac_f32_e32 v9, 0xbf737871, v76
	;; [unrolled: 1-line block ×4, first 2 shown]
	v_add_f32_e32 v75, v103, v104
	v_fma_f32 v76, -0.5, v75, v10
	v_sub_f32_e32 v74, v97, v74
	v_sub_f32_e32 v77, v99, v101
	;; [unrolled: 1-line block ×3, first 2 shown]
	v_mov_b32_e32 v78, v76
	v_add_f32_e32 v74, v74, v77
	v_fmac_f32_e32 v78, 0x3f737871, v75
	v_sub_f32_e32 v77, v52, v53
	v_sub_f32_e32 v79, v102, v103
	;; [unrolled: 1-line block ×3, first 2 shown]
	v_fmac_f32_e32 v76, 0xbf737871, v75
	v_fmac_f32_e32 v78, 0x3f167918, v77
	v_add_f32_e32 v79, v79, v80
	v_fmac_f32_e32 v76, 0xbf167918, v77
	v_fmac_f32_e32 v78, 0x3e9e377a, v79
	;; [unrolled: 1-line block ×3, first 2 shown]
	v_add_f32_e32 v79, v102, v91
	v_fmac_f32_e32 v25, 0x3e9e377a, v74
	v_fmac_f32_e32 v9, 0x3e9e377a, v74
	v_add_f32_e32 v74, v10, v102
	v_fma_f32 v10, -0.5, v79, v10
	v_mov_b32_e32 v80, v10
	v_fmac_f32_e32 v80, 0xbf737871, v77
	v_sub_f32_e32 v79, v103, v102
	v_sub_f32_e32 v81, v104, v91
	v_fmac_f32_e32 v10, 0x3f737871, v77
	v_add_f32_e32 v77, v52, v53
	v_fmac_f32_e32 v80, 0x3f167918, v75
	v_add_f32_e32 v79, v79, v81
	v_fmac_f32_e32 v10, 0xbf167918, v75
	v_fma_f32 v77, -0.5, v77, v11
	v_fmac_f32_e32 v80, 0x3e9e377a, v79
	v_fmac_f32_e32 v10, 0x3e9e377a, v79
	v_sub_f32_e32 v82, v102, v91
	v_mov_b32_e32 v79, v77
	v_fmac_f32_e32 v79, 0xbf737871, v82
	v_sub_f32_e32 v83, v103, v104
	v_sub_f32_e32 v81, v46, v52
	v_fmac_f32_e32 v77, 0x3f737871, v82
	v_fmac_f32_e32 v79, 0xbf167918, v83
	v_add_f32_e32 v81, v81, v84
	v_fmac_f32_e32 v77, 0x3f167918, v83
	v_fmac_f32_e32 v79, 0x3e9e377a, v81
	;; [unrolled: 1-line block ×3, first 2 shown]
	v_add_f32_e32 v81, v46, v72
	v_add_f32_e32 v75, v11, v46
	v_fmac_f32_e32 v11, -0.5, v81
	v_mov_b32_e32 v81, v11
	v_add_f32_e32 v75, v75, v52
	v_fmac_f32_e32 v81, 0x3f737871, v83
	v_sub_f32_e32 v46, v52, v46
	v_sub_f32_e32 v52, v53, v72
	v_fmac_f32_e32 v11, 0xbf737871, v83
	v_fmac_f32_e32 v81, 0xbf167918, v82
	v_add_f32_e32 v46, v46, v52
	v_fmac_f32_e32 v11, 0x3f167918, v82
	v_fmac_f32_e32 v81, 0x3e9e377a, v46
	;; [unrolled: 1-line block ×3, first 2 shown]
	v_add_f32_e32 v46, v4, v70
	v_add_f32_e32 v46, v46, v71
	;; [unrolled: 1-line block ×5, first 2 shown]
	v_fma_f32 v84, -0.5, v46, v4
	v_add_f32_e32 v75, v75, v53
	v_sub_f32_e32 v46, v39, v45
	v_mov_b32_e32 v86, v84
	v_add_f32_e32 v75, v75, v72
	v_fmac_f32_e32 v86, 0x3f737871, v46
	v_sub_f32_e32 v52, v40, v43
	v_sub_f32_e32 v53, v70, v71
	;; [unrolled: 1-line block ×3, first 2 shown]
	v_fmac_f32_e32 v84, 0xbf737871, v46
	v_fmac_f32_e32 v86, 0x3f167918, v52
	v_add_f32_e32 v53, v53, v72
	v_fmac_f32_e32 v84, 0xbf167918, v52
	v_fmac_f32_e32 v86, 0x3e9e377a, v53
	;; [unrolled: 1-line block ×3, first 2 shown]
	v_add_f32_e32 v53, v70, v92
	v_fma_f32 v4, -0.5, v53, v4
	v_mov_b32_e32 v72, v4
	v_fmac_f32_e32 v72, 0xbf737871, v52
	v_fmac_f32_e32 v4, 0x3f737871, v52
	;; [unrolled: 1-line block ×4, first 2 shown]
	v_add_f32_e32 v46, v5, v39
	v_add_f32_e32 v46, v46, v40
	v_sub_f32_e32 v53, v71, v70
	v_sub_f32_e32 v83, v73, v92
	v_add_f32_e32 v46, v46, v43
	v_add_f32_e32 v53, v53, v83
	;; [unrolled: 1-line block ×4, first 2 shown]
	v_fma_f32 v85, -0.5, v46, v5
	v_sub_f32_e32 v46, v70, v92
	v_mov_b32_e32 v87, v85
	v_fmac_f32_e32 v72, 0x3e9e377a, v53
	v_fmac_f32_e32 v4, 0x3e9e377a, v53
	;; [unrolled: 1-line block ×3, first 2 shown]
	v_sub_f32_e32 v52, v71, v73
	v_sub_f32_e32 v53, v39, v40
	;; [unrolled: 1-line block ×3, first 2 shown]
	v_fmac_f32_e32 v85, 0x3f737871, v46
	v_fmac_f32_e32 v87, 0xbf167918, v52
	v_add_f32_e32 v53, v53, v70
	v_fmac_f32_e32 v85, 0x3f167918, v52
	v_fmac_f32_e32 v87, 0x3e9e377a, v53
	v_fmac_f32_e32 v85, 0x3e9e377a, v53
	v_add_f32_e32 v53, v39, v45
	v_sub_f32_e32 v39, v40, v39
	v_sub_f32_e32 v40, v43, v45
	v_fma_f32 v5, -0.5, v53, v5
	v_add_f32_e32 v39, v39, v40
	v_add_f32_e32 v40, v42, v44
	v_mov_b32_e32 v73, v5
	v_fma_f32 v45, -0.5, v40, v6
	v_fmac_f32_e32 v73, 0x3f737871, v52
	v_fmac_f32_e32 v5, 0xbf737871, v52
	v_sub_f32_e32 v40, v20, v38
	v_mov_b32_e32 v70, v45
	v_fmac_f32_e32 v73, 0xbf167918, v46
	v_fmac_f32_e32 v5, 0x3f167918, v46
	v_fmac_f32_e32 v70, 0x3f737871, v40
	v_sub_f32_e32 v46, v21, v37
	v_sub_f32_e32 v43, v41, v42
	;; [unrolled: 1-line block ×3, first 2 shown]
	v_fmac_f32_e32 v45, 0xbf737871, v40
	v_fmac_f32_e32 v70, 0x3f167918, v46
	v_add_f32_e32 v43, v43, v52
	v_fmac_f32_e32 v45, 0xbf167918, v46
	v_fmac_f32_e32 v70, 0x3e9e377a, v43
	;; [unrolled: 1-line block ×3, first 2 shown]
	v_add_f32_e32 v43, v41, v47
	v_fmac_f32_e32 v73, 0x3e9e377a, v39
	v_fmac_f32_e32 v5, 0x3e9e377a, v39
	v_add_f32_e32 v39, v6, v41
	v_fma_f32 v6, -0.5, v43, v6
	v_mov_b32_e32 v43, v6
	v_fmac_f32_e32 v43, 0xbf737871, v46
	v_fmac_f32_e32 v6, 0x3f737871, v46
	v_add_f32_e32 v46, v21, v37
	v_add_f32_e32 v39, v39, v42
	v_fma_f32 v46, -0.5, v46, v7
	v_add_f32_e32 v39, v39, v44
	v_sub_f32_e32 v52, v42, v41
	v_sub_f32_e32 v41, v41, v47
	v_mov_b32_e32 v71, v46
	v_add_f32_e32 v39, v39, v47
	v_sub_f32_e32 v53, v44, v47
	v_fmac_f32_e32 v71, 0xbf737871, v41
	v_sub_f32_e32 v42, v42, v44
	v_sub_f32_e32 v44, v20, v21
	;; [unrolled: 1-line block ×3, first 2 shown]
	v_fmac_f32_e32 v46, 0x3f737871, v41
	v_fmac_f32_e32 v43, 0x3f167918, v40
	v_fmac_f32_e32 v6, 0xbf167918, v40
	v_add_f32_e32 v40, v7, v20
	v_fmac_f32_e32 v71, 0xbf167918, v42
	v_add_f32_e32 v44, v44, v47
	v_fmac_f32_e32 v46, 0x3f167918, v42
	v_add_f32_e32 v40, v40, v21
	v_fmac_f32_e32 v71, 0x3e9e377a, v44
	v_fmac_f32_e32 v46, 0x3e9e377a, v44
	v_add_f32_e32 v44, v20, v38
	v_sub_f32_e32 v20, v21, v20
	v_sub_f32_e32 v21, v37, v38
	v_add_f32_e32 v52, v52, v53
	v_fmac_f32_e32 v7, -0.5, v44
	v_add_f32_e32 v20, v20, v21
	v_add_f32_e32 v21, v90, v94
	v_fmac_f32_e32 v43, 0x3e9e377a, v52
	v_fmac_f32_e32 v6, 0x3e9e377a, v52
	v_mov_b32_e32 v44, v7
	v_fma_f32 v52, -0.5, v21, v0
	v_add_f32_e32 v40, v40, v37
	v_fmac_f32_e32 v44, 0x3f737871, v42
	v_fmac_f32_e32 v7, 0xbf737871, v42
	v_sub_f32_e32 v21, v89, v107
	v_mov_b32_e32 v37, v52
	v_add_f32_e32 v40, v40, v38
	v_fmac_f32_e32 v44, 0xbf167918, v41
	v_fmac_f32_e32 v7, 0x3f167918, v41
	;; [unrolled: 1-line block ×3, first 2 shown]
	v_sub_f32_e32 v38, v93, v105
	v_sub_f32_e32 v41, v88, v90
	;; [unrolled: 1-line block ×3, first 2 shown]
	v_fmac_f32_e32 v52, 0xbf737871, v21
	v_fmac_f32_e32 v37, 0x3f167918, v38
	v_add_f32_e32 v41, v41, v42
	v_fmac_f32_e32 v52, 0xbf167918, v38
	v_fmac_f32_e32 v37, 0x3e9e377a, v41
	;; [unrolled: 1-line block ×3, first 2 shown]
	v_add_f32_e32 v41, v88, v106
	v_fmac_f32_e32 v44, 0x3e9e377a, v20
	v_fmac_f32_e32 v7, 0x3e9e377a, v20
	v_add_f32_e32 v20, v0, v88
	v_fma_f32 v0, -0.5, v41, v0
	v_mov_b32_e32 v41, v0
	v_fmac_f32_e32 v41, 0xbf737871, v38
	v_fmac_f32_e32 v0, 0x3f737871, v38
	v_add_f32_e32 v38, v93, v105
	v_add_f32_e32 v12, v12, v96
	v_add_f32_e32 v13, v13, v97
	v_add_f32_e32 v74, v74, v103
	v_sub_f32_e32 v42, v90, v88
	v_sub_f32_e32 v47, v94, v106
	v_fma_f32 v53, -0.5, v38, v1
	v_add_f32_e32 v12, v12, v98
	v_add_f32_e32 v13, v13, v99
	v_add_f32_e32 v74, v74, v104
	v_fmac_f32_e32 v41, 0x3f167918, v21
	v_add_f32_e32 v42, v42, v47
	v_fmac_f32_e32 v0, 0xbf167918, v21
	v_sub_f32_e32 v47, v88, v106
	v_mov_b32_e32 v38, v53
	v_add_f32_e32 v12, v12, v100
	v_add_f32_e32 v13, v13, v101
	;; [unrolled: 1-line block ×4, first 2 shown]
	v_fmac_f32_e32 v41, 0x3e9e377a, v42
	v_fmac_f32_e32 v0, 0x3e9e377a, v42
	;; [unrolled: 1-line block ×3, first 2 shown]
	v_sub_f32_e32 v88, v90, v94
	v_sub_f32_e32 v42, v89, v93
	v_sub_f32_e32 v90, v107, v105
	v_fmac_f32_e32 v53, 0x3f737871, v47
	v_fmac_f32_e32 v38, 0xbf167918, v88
	v_add_f32_e32 v42, v42, v90
	v_fmac_f32_e32 v53, 0x3f167918, v88
	ds_write2_b64 v33, v[12:13], v[22:23] offset1:30
	ds_write2_b64 v33, v[24:25], v[8:9] offset0:60 offset1:90
	ds_write_b64 v33, v[18:19] offset:960
	ds_write2_b64 v2, v[74:75], v[78:79] offset1:30
	ds_write2_b64 v2, v[80:81], v[10:11] offset0:60 offset1:90
	ds_write_b64 v2, v[76:77] offset:960
	v_mul_u32_u24_e32 v2, 0x4b0, v14
	v_fmac_f32_e32 v38, 0x3e9e377a, v42
	v_fmac_f32_e32 v53, 0x3e9e377a, v42
	v_add_f32_e32 v42, v89, v107
	v_add3_u32 v2, 0, v2, v3
	v_add_f32_e32 v21, v1, v89
	v_fmac_f32_e32 v1, -0.5, v42
	ds_write2_b64 v2, v[82:83], v[86:87] offset1:30
	ds_write2_b64 v2, v[72:73], v[4:5] offset0:60 offset1:90
	ds_write_b64 v2, v[84:85] offset:960
	v_mul_u32_u24_e32 v2, 0x4b0, v35
	v_lshlrev_b32_e32 v3, 3, v36
	v_add_f32_e32 v21, v21, v93
	v_mov_b32_e32 v42, v1
	v_add3_u32 v2, 0, v2, v3
	v_add_f32_e32 v20, v20, v94
	v_add_f32_e32 v21, v21, v105
	v_fmac_f32_e32 v42, 0x3f737871, v88
	v_sub_f32_e32 v89, v93, v89
	v_sub_f32_e32 v90, v105, v107
	v_fmac_f32_e32 v1, 0xbf737871, v88
	ds_write2_b64 v2, v[39:40], v[70:71] offset1:30
	ds_write2_b64 v2, v[43:44], v[6:7] offset0:60 offset1:90
	ds_write_b64 v2, v[45:46] offset:960
	v_mul_u32_u24_e32 v2, 0x4b0, v16
	v_lshlrev_b32_e32 v3, 3, v17
	v_add_f32_e32 v20, v20, v106
	v_add_f32_e32 v21, v21, v107
	v_fmac_f32_e32 v42, 0xbf167918, v47
	v_add_f32_e32 v89, v89, v90
	v_fmac_f32_e32 v1, 0x3f167918, v47
	v_add3_u32 v2, 0, v2, v3
	v_fmac_f32_e32 v42, 0x3e9e377a, v89
	v_fmac_f32_e32 v1, 0x3e9e377a, v89
	ds_write2_b64 v2, v[20:21], v[37:38] offset1:30
	ds_write2_b64 v2, v[41:42], v[0:1] offset0:60 offset1:90
	ds_write_b64 v2, v[52:53] offset:960
	v_add_u32_e32 v0, 0x2c00, v62
	s_waitcnt lgkmcnt(0)
	s_barrier
	ds_read2_b64 v[12:15], v62 offset1:90
	ds_read2_b64 v[32:35], v32 offset0:110 offset1:200
	ds_read2_b64 v[36:39], v0 offset0:92 offset1:182
	ds_read2_b64 v[8:11], v30 offset0:52 offset1:142
	ds_read2_b64 v[44:47], v28 offset0:162 offset1:252
	ds_read2_b64 v[40:43], v31 offset0:144 offset1:234
	ds_read2_b64 v[4:7], v27 offset0:104 offset1:194
	ds_read2_b64 v[28:31], v29 offset0:86 offset1:176
	ds_read2_b64 v[24:27], v60 offset0:68 offset1:158
	ds_read2_b64 v[0:3], v55 offset0:28 offset1:118
	ds_read2_b64 v[20:23], v54 offset0:10 offset1:100
	ds_read2_b64 v[16:19], v61 offset0:120 offset1:210
	s_and_saveexec_b64 s[2:3], vcc
	s_cbranch_execz .LBB0_27
; %bb.26:
	ds_read_b64 v[52:53], v62 offset:5760
	ds_read_b64 v[50:51], v62 offset:11760
	;; [unrolled: 1-line block ×3, first 2 shown]
.LBB0_27:
	s_or_b64 exec, exec, s[2:3]
	v_lshrrev_b16_e32 v98, 1, v69
	v_lshlrev_b32_e32 v54, 1, v56
	v_mov_b32_e32 v55, 0
	v_mul_u32_u24_e32 v98, 0xda75, v98
	v_lshlrev_b64 v[60:61], 3, v[54:55]
	v_lshrrev_b32_e32 v98, 22, v98
	v_mul_lo_u16_e32 v98, 0x96, v98
	v_mov_b32_e32 v78, s9
	v_add_co_u32_e64 v60, s[2:3], s8, v60
	v_sub_u16_e32 v69, v69, v98
	v_addc_co_u32_e64 v61, s[2:3], v78, v61, s[2:3]
	v_lshlrev_b32_e32 v98, 4, v69
	global_load_dwordx4 v[70:73], v[60:61], off offset:1120
	v_cmp_gt_u32_e64 s[2:3], 60, v56
	global_load_dwordx4 v[98:101], v98, s[8:9] offset:1120
	v_subrev_u32_e32 v60, 60, v56
	v_add_u32_e32 v54, 60, v54
	v_cndmask_b32_e64 v102, v60, v64, s[2:3]
	v_lshlrev_b64 v[74:75], 3, v[54:55]
	v_lshlrev_b32_e32 v60, 1, v102
	v_mov_b32_e32 v61, v55
	v_lshlrev_b64 v[60:61], 3, v[60:61]
	v_add_co_u32_e64 v74, s[2:3], s8, v74
	v_addc_co_u32_e64 v75, s[2:3], v78, v75, s[2:3]
	v_lshrrev_b16_e32 v54, 1, v63
	v_lshrrev_b16_e32 v90, 1, v67
	v_add_co_u32_e64 v60, s[2:3], s8, v60
	v_mul_u32_u24_e32 v54, 0xda75, v54
	v_mul_u32_u24_e32 v90, 0xda75, v90
	v_addc_co_u32_e64 v61, s[2:3], v78, v61, s[2:3]
	v_lshrrev_b32_e32 v54, 22, v54
	v_lshrrev_b32_e32 v90, 22, v90
	global_load_dwordx4 v[74:77], v[74:75], off offset:1120
	v_mul_lo_u16_e32 v90, 0x96, v90
	global_load_dwordx4 v[78:81], v[60:61], off offset:1120
	v_mul_lo_u16_e32 v60, 0x96, v54
	v_sub_u16_e32 v60, v63, v60
	v_sub_u16_e32 v67, v67, v90
	v_lshlrev_b32_e32 v61, 4, v60
	v_lshlrev_b32_e32 v90, 4, v67
	global_load_dwordx4 v[82:85], v61, s[8:9] offset:1120
	v_lshrrev_b16_e32 v94, 1, v68
	global_load_dwordx4 v[90:93], v90, s[8:9] offset:1120
	v_lshrrev_b16_e32 v61, 1, v57
	v_mul_u32_u24_e32 v61, 0xda75, v61
	v_lshrrev_b32_e32 v61, 22, v61
	v_mul_lo_u16_e32 v61, 0x96, v61
	v_sub_u16_e32 v61, v57, v61
	v_lshlrev_b32_e32 v86, 4, v61
	v_mul_u32_u24_e32 v94, 0xda75, v94
	global_load_dwordx4 v[86:89], v86, s[8:9] offset:1120
	v_lshrrev_b32_e32 v103, 22, v94
	v_mul_lo_u16_e32 v94, 0x96, v103
	v_sub_u16_e32 v68, v68, v94
	v_lshlrev_b32_e32 v94, 4, v68
	global_load_dwordx4 v[94:97], v94, s[8:9] offset:1120
	s_waitcnt vmcnt(0) lgkmcnt(0)
	s_barrier
	v_cmp_lt_u32_e64 s[2:3], 59, v56
	v_mul_f32_e32 v104, v71, v33
	v_mul_f32_e32 v71, v71, v32
	;; [unrolled: 1-line block ×4, first 2 shown]
	v_fmac_f32_e32 v71, v70, v33
	v_fma_f32 v33, v72, v36, -v105
	v_fmac_f32_e32 v73, v72, v37
	v_fma_f32 v32, v70, v32, -v104
	v_mul_f32_e32 v72, v77, v40
	v_mul_f32_e32 v36, v75, v45
	;; [unrolled: 1-line block ×7, first 2 shown]
	v_fmac_f32_e32 v72, v76, v41
	v_mul_f32_e32 v41, v83, v47
	v_mul_f32_e32 v81, v81, v38
	v_fmac_f32_e32 v77, v78, v35
	v_fma_f32 v35, v80, v38, -v79
	v_fma_f32 v38, v82, v46, -v41
	v_mul_f32_e32 v41, v43, v85
	v_fma_f32 v41, v42, v84, -v41
	v_mul_f32_e32 v42, v42, v85
	v_fmac_f32_e32 v42, v43, v84
	v_fma_f32 v36, v74, v44, -v36
	v_mul_f32_e32 v43, v29, v87
	v_fma_f32 v43, v28, v86, -v43
	v_mul_f32_e32 v44, v28, v87
	v_mul_f32_e32 v28, v25, v89
	v_fmac_f32_e32 v37, v74, v45
	v_fmac_f32_e32 v81, v80, v39
	v_mul_f32_e32 v39, v83, v46
	v_fma_f32 v45, v24, v88, -v28
	v_mul_f32_e32 v46, v24, v89
	v_mul_f32_e32 v24, v31, v91
	v_fmac_f32_e32 v39, v82, v47
	v_fma_f32 v47, v30, v90, -v24
	v_mul_f32_e32 v24, v27, v93
	v_fma_f32 v74, v26, v92, -v24
	v_mul_f32_e32 v24, v21, v95
	v_fma_f32 v40, v76, v40, -v70
	v_fma_f32 v34, v78, v34, -v75
	;; [unrolled: 1-line block ×3, first 2 shown]
	v_mul_f32_e32 v78, v20, v95
	v_mul_f32_e32 v20, v17, v97
	v_fma_f32 v79, v16, v96, -v20
	v_mul_f32_e32 v80, v16, v97
	v_mul_f32_e32 v16, v23, v99
	v_fmac_f32_e32 v80, v17, v96
	v_fma_f32 v82, v22, v98, -v16
	v_mul_f32_e32 v16, v19, v101
	v_add_f32_e32 v17, v32, v33
	v_fma_f32 v84, v18, v100, -v16
	v_mul_f32_e32 v85, v18, v101
	v_add_f32_e32 v16, v12, v32
	v_fma_f32 v12, -0.5, v17, v12
	v_fmac_f32_e32 v85, v19, v100
	v_sub_f32_e32 v17, v71, v73
	v_mov_b32_e32 v18, v12
	v_add_f32_e32 v19, v71, v73
	v_fmac_f32_e32 v18, 0x3f5db3d7, v17
	v_fmac_f32_e32 v12, 0xbf5db3d7, v17
	v_add_f32_e32 v17, v13, v71
	v_fma_f32 v13, -0.5, v19, v13
	v_fmac_f32_e32 v78, v21, v94
	v_sub_f32_e32 v20, v32, v33
	v_mov_b32_e32 v19, v13
	v_add_f32_e32 v21, v34, v35
	v_mul_f32_e32 v83, v22, v99
	v_fmac_f32_e32 v19, 0xbf5db3d7, v20
	v_fmac_f32_e32 v13, 0x3f5db3d7, v20
	v_add_f32_e32 v20, v14, v34
	v_fma_f32 v14, -0.5, v21, v14
	v_fmac_f32_e32 v83, v23, v98
	v_sub_f32_e32 v21, v77, v81
	v_mov_b32_e32 v22, v14
	v_add_f32_e32 v23, v77, v81
	v_fmac_f32_e32 v22, 0x3f5db3d7, v21
	v_fmac_f32_e32 v14, 0xbf5db3d7, v21
	v_add_f32_e32 v21, v15, v77
	v_fmac_f32_e32 v15, -0.5, v23
	v_fmac_f32_e32 v46, v25, v88
	v_sub_f32_e32 v24, v34, v35
	v_mov_b32_e32 v23, v15
	v_add_f32_e32 v25, v36, v40
	v_mul_f32_e32 v75, v26, v93
	v_fmac_f32_e32 v23, 0xbf5db3d7, v24
	v_fmac_f32_e32 v15, 0x3f5db3d7, v24
	v_add_f32_e32 v24, v8, v36
	v_fma_f32 v8, -0.5, v25, v8
	v_fmac_f32_e32 v75, v27, v92
	v_sub_f32_e32 v25, v37, v72
	v_mov_b32_e32 v26, v8
	v_add_f32_e32 v27, v37, v72
	v_fmac_f32_e32 v26, 0x3f5db3d7, v25
	v_fmac_f32_e32 v8, 0xbf5db3d7, v25
	v_add_f32_e32 v25, v9, v37
	v_fma_f32 v9, -0.5, v27, v9
	v_fmac_f32_e32 v44, v29, v86
	v_sub_f32_e32 v28, v36, v40
	v_mov_b32_e32 v27, v9
	v_add_f32_e32 v29, v38, v41
	v_mul_f32_e32 v70, v30, v91
	v_fmac_f32_e32 v27, 0xbf5db3d7, v28
	v_fmac_f32_e32 v9, 0x3f5db3d7, v28
	v_add_f32_e32 v28, v10, v38
	v_fma_f32 v10, -0.5, v29, v10
	v_fmac_f32_e32 v70, v31, v90
	v_sub_f32_e32 v29, v39, v42
	v_mov_b32_e32 v30, v10
	v_add_f32_e32 v31, v39, v42
	v_fmac_f32_e32 v30, 0x3f5db3d7, v29
	v_fmac_f32_e32 v10, 0xbf5db3d7, v29
	v_add_f32_e32 v29, v11, v39
	v_fmac_f32_e32 v11, -0.5, v31
	v_add_f32_e32 v16, v16, v33
	v_sub_f32_e32 v32, v38, v41
	v_mov_b32_e32 v31, v11
	v_add_f32_e32 v33, v43, v45
	v_fmac_f32_e32 v31, 0xbf5db3d7, v32
	v_fmac_f32_e32 v11, 0x3f5db3d7, v32
	v_add_f32_e32 v32, v4, v43
	v_fma_f32 v4, -0.5, v33, v4
	v_add_f32_e32 v20, v20, v35
	v_sub_f32_e32 v33, v44, v46
	v_mov_b32_e32 v34, v4
	v_add_f32_e32 v35, v44, v46
	v_add_f32_e32 v17, v17, v73
	v_fmac_f32_e32 v34, 0x3f5db3d7, v33
	v_fmac_f32_e32 v4, 0xbf5db3d7, v33
	v_add_f32_e32 v33, v5, v44
	v_fma_f32 v5, -0.5, v35, v5
	v_sub_f32_e32 v36, v43, v45
	v_mov_b32_e32 v35, v5
	v_add_f32_e32 v37, v47, v74
	ds_write2_b64 v62, v[16:17], v[18:19] offset1:150
	ds_write_b64 v62, v[12:13] offset:2400
	v_mov_b32_e32 v12, 0xe10
	v_fmac_f32_e32 v35, 0xbf5db3d7, v36
	v_fmac_f32_e32 v5, 0x3f5db3d7, v36
	v_add_f32_e32 v36, v6, v47
	v_fma_f32 v6, -0.5, v37, v6
	v_cndmask_b32_e64 v12, 0, v12, s[2:3]
	v_lshlrev_b32_e32 v13, 3, v102
	v_add_f32_e32 v21, v21, v81
	v_sub_f32_e32 v37, v70, v75
	v_mov_b32_e32 v38, v6
	v_add_f32_e32 v39, v70, v75
	v_add3_u32 v12, 0, v12, v13
	v_add_f32_e32 v24, v24, v40
	v_add_f32_e32 v25, v25, v72
	v_fmac_f32_e32 v38, 0x3f5db3d7, v37
	v_fmac_f32_e32 v6, 0xbf5db3d7, v37
	v_add_f32_e32 v37, v7, v70
	v_fmac_f32_e32 v7, -0.5, v39
	ds_write2_b64 v12, v[20:21], v[22:23] offset1:150
	ds_write_b64 v12, v[14:15] offset:2400
	v_add_u32_e32 v12, 0xc00, v62
	v_add_f32_e32 v28, v28, v41
	v_sub_f32_e32 v40, v47, v74
	v_mov_b32_e32 v39, v7
	v_add_f32_e32 v41, v76, v79
	ds_write2_b64 v12, v[24:25], v[26:27] offset0:96 offset1:246
	ds_write_b64 v62, v[8:9] offset:6240
	v_mul_u32_u24_e32 v8, 0xe10, v54
	v_lshlrev_b32_e32 v9, 3, v60
	v_add_f32_e32 v29, v29, v42
	v_fmac_f32_e32 v39, 0xbf5db3d7, v40
	v_fmac_f32_e32 v7, 0x3f5db3d7, v40
	v_add_f32_e32 v40, v0, v76
	v_fma_f32 v0, -0.5, v41, v0
	v_add3_u32 v8, 0, v8, v9
	v_sub_f32_e32 v41, v78, v80
	v_mov_b32_e32 v42, v0
	v_add_f32_e32 v43, v78, v80
	ds_write2_b64 v8, v[28:29], v[30:31] offset1:150
	ds_write_b64 v8, v[10:11] offset:2400
	v_lshl_add_u32 v8, v61, 3, 0
	v_add_f32_e32 v32, v32, v45
	v_add_f32_e32 v33, v33, v46
	v_fmac_f32_e32 v42, 0x3f5db3d7, v41
	v_fmac_f32_e32 v0, 0xbf5db3d7, v41
	v_add_f32_e32 v41, v1, v78
	v_fma_f32 v1, -0.5, v43, v1
	v_add_u32_e32 v9, 0x1c00, v8
	v_sub_f32_e32 v44, v76, v79
	v_mov_b32_e32 v43, v1
	v_add_f32_e32 v45, v82, v84
	ds_write2_b64 v9, v[32:33], v[34:35] offset0:4 offset1:154
	ds_write_b64 v8, v[4:5] offset:9600
	v_lshl_add_u32 v4, v67, 3, 0
	v_add_f32_e32 v36, v36, v74
	v_add_f32_e32 v37, v37, v75
	v_fmac_f32_e32 v43, 0xbf5db3d7, v44
	v_fmac_f32_e32 v1, 0x3f5db3d7, v44
	v_add_f32_e32 v44, v2, v82
	v_fma_f32 v2, -0.5, v45, v2
	v_add_u32_e32 v5, 0x2800, v4
	v_sub_f32_e32 v45, v83, v85
	v_mov_b32_e32 v46, v2
	v_add_f32_e32 v47, v83, v85
	ds_write2_b64 v5, v[36:37], v[38:39] offset0:70 offset1:220
	ds_write_b64 v4, v[6:7] offset:13200
	v_mul_u32_u24_e32 v4, 0xe10, v103
	v_lshlrev_b32_e32 v5, 3, v68
	v_add_f32_e32 v40, v40, v79
	v_add_f32_e32 v41, v41, v80
	v_fmac_f32_e32 v46, 0x3f5db3d7, v45
	v_fmac_f32_e32 v2, 0xbf5db3d7, v45
	v_add_f32_e32 v45, v3, v83
	v_fmac_f32_e32 v3, -0.5, v47
	v_add3_u32 v4, 0, v4, v5
	v_sub_f32_e32 v70, v82, v84
	v_mov_b32_e32 v47, v3
	ds_write2_b64 v4, v[40:41], v[42:43] offset1:150
	ds_write_b64 v4, v[0:1] offset:2400
	v_lshl_add_u32 v0, v69, 3, 0
	v_add_f32_e32 v44, v44, v84
	v_add_f32_e32 v45, v45, v85
	v_fmac_f32_e32 v47, 0xbf5db3d7, v70
	v_add_u32_e32 v1, 0x3800, v0
	v_fmac_f32_e32 v3, 0x3f5db3d7, v70
	ds_write2_b64 v1, v[44:45], v[46:47] offset0:8 offset1:158
	ds_write_b64 v0, v[2:3] offset:16800
	s_and_saveexec_b64 s[2:3], vcc
	s_cbranch_execz .LBB0_29
; %bb.28:
	v_lshrrev_b16_e32 v0, 1, v66
	v_mul_u32_u24_e32 v0, 0xda75, v0
	v_lshrrev_b32_e32 v0, 22, v0
	v_mul_lo_u16_e32 v0, 0x96, v0
	v_sub_u16_e32 v4, v66, v0
	v_lshlrev_b32_e32 v0, 4, v4
	global_load_dwordx4 v[0:3], v0, s[8:9] offset:1120
	v_lshl_add_u32 v6, v4, 3, 0
	v_add_u32_e32 v7, 0x3800, v6
	s_waitcnt vmcnt(0)
	v_mul_f32_e32 v4, v51, v1
	v_mul_f32_e32 v5, v49, v3
	;; [unrolled: 1-line block ×4, first 2 shown]
	v_fma_f32 v4, v50, v0, -v4
	v_fma_f32 v5, v48, v2, -v5
	v_fmac_f32_e32 v1, v51, v0
	v_fmac_f32_e32 v3, v49, v2
	v_add_f32_e32 v0, v1, v3
	v_add_f32_e32 v9, v4, v5
	v_sub_f32_e32 v8, v4, v5
	v_add_f32_e32 v2, v53, v1
	v_sub_f32_e32 v10, v1, v3
	v_add_f32_e32 v4, v52, v4
	v_fma_f32 v1, -0.5, v0, v53
	v_fma_f32 v0, -0.5, v9, v52
	v_add_f32_e32 v3, v2, v3
	v_add_f32_e32 v2, v4, v5
	v_mov_b32_e32 v5, v1
	v_fmac_f32_e32 v1, 0xbf5db3d7, v8
	v_mov_b32_e32 v4, v0
	v_fmac_f32_e32 v0, 0x3f5db3d7, v10
	v_fmac_f32_e32 v5, 0x3f5db3d7, v8
	;; [unrolled: 1-line block ×3, first 2 shown]
	ds_write2_b64 v7, v[2:3], v[0:1] offset0:8 offset1:158
	ds_write_b64 v6, v[4:5] offset:16800
.LBB0_29:
	s_or_b64 exec, exec, s[2:3]
	v_lshlrev_b32_e32 v54, 2, v56
	v_lshlrev_b64 v[0:1], 3, v[54:55]
	v_mov_b32_e32 v6, s9
	v_add_co_u32_e32 v0, vcc, s8, v0
	v_addc_co_u32_e32 v1, vcc, v6, v1, vcc
	v_lshlrev_b32_e32 v54, 2, v64
	s_waitcnt lgkmcnt(0)
	s_barrier
	global_load_dwordx4 v[23:26], v[0:1], off offset:3520
	global_load_dwordx4 v[27:30], v[0:1], off offset:3536
	v_lshlrev_b64 v[0:1], 3, v[54:55]
	v_lshlrev_b32_e32 v54, 2, v65
	v_add_co_u32_e32 v0, vcc, s8, v0
	v_addc_co_u32_e32 v1, vcc, v6, v1, vcc
	global_load_dwordx4 v[31:34], v[0:1], off offset:3520
	global_load_dwordx4 v[35:38], v[0:1], off offset:3536
	v_lshlrev_b64 v[0:1], 3, v[54:55]
	v_lshlrev_b32_e32 v54, 2, v63
	v_add_co_u32_e32 v0, vcc, s8, v0
	v_addc_co_u32_e32 v1, vcc, v6, v1, vcc
	v_lshlrev_b64 v[4:5], 3, v[54:55]
	global_load_dwordx4 v[39:42], v[0:1], off offset:3520
	global_load_dwordx4 v[43:46], v[0:1], off offset:3536
	v_add_co_u32_e32 v4, vcc, s8, v4
	v_addc_co_u32_e32 v5, vcc, v6, v5, vcc
	v_lshlrev_b32_e32 v54, 2, v57
	ds_read2_b64 v[0:3], v62 offset1:90
	global_load_dwordx4 v[47:50], v[4:5], off offset:3536
	global_load_dwordx4 v[63:66], v[4:5], off offset:3520
	v_lshlrev_b64 v[4:5], 3, v[54:55]
	v_add_u32_e32 v13, 0x800, v62
	v_add_co_u32_e32 v4, vcc, s8, v4
	v_addc_co_u32_e32 v5, vcc, v6, v5, vcc
	global_load_dwordx4 v[51:54], v[4:5], off offset:3536
	global_load_dwordx4 v[67:70], v[4:5], off offset:3520
	v_add_u32_e32 v20, 0x1800, v62
	v_add_u32_e32 v12, 0x2400, v62
	;; [unrolled: 1-line block ×10, first 2 shown]
	ds_read_b64 v[60:61], v62 offset:17280
	ds_read2_b64 v[4:7], v13 offset0:104 offset1:194
	ds_read2_b64 v[71:74], v20 offset0:132 offset1:222
	;; [unrolled: 1-line block ×11, first 2 shown]
	s_waitcnt vmcnt(0) lgkmcnt(0)
	s_barrier
	v_mul_f32_e32 v55, v24, v7
	v_mul_f32_e32 v57, v24, v6
	;; [unrolled: 1-line block ×3, first 2 shown]
	v_fma_f32 v55, v23, v6, -v55
	v_mul_f32_e32 v24, v26, v72
	v_mul_f32_e32 v107, v26, v71
	;; [unrolled: 1-line block ×5, first 2 shown]
	v_fmac_f32_e32 v108, v27, v78
	v_fma_f32 v78, v83, v31, -v6
	v_mul_f32_e32 v6, v74, v34
	v_mul_f32_e32 v30, v79, v30
	v_fmac_f32_e32 v107, v25, v72
	v_fma_f32 v72, v27, v77, -v26
	v_fma_f32 v26, v79, v29, -v28
	;; [unrolled: 1-line block ×3, first 2 shown]
	v_mul_f32_e32 v73, v73, v34
	v_mul_f32_e32 v6, v88, v36
	v_fmac_f32_e32 v73, v74, v33
	v_fma_f32 v74, v87, v35, -v6
	v_mul_f32_e32 v6, v82, v38
	v_fma_f32 v34, v81, v37, -v6
	v_mul_f32_e32 v6, v86, v40
	v_mul_f32_e32 v38, v81, v38
	v_fma_f32 v81, v85, v39, -v6
	v_mul_f32_e32 v6, v92, v42
	;; [unrolled: 3-line block ×3, first 2 shown]
	v_fmac_f32_e32 v38, v82, v37
	v_mul_f32_e32 v82, v85, v40
	v_fma_f32 v85, v89, v43, -v6
	v_mul_f32_e32 v6, v96, v46
	v_fmac_f32_e32 v77, v84, v31
	v_mul_f32_e32 v84, v91, v42
	v_fma_f32 v42, v95, v45, -v6
	v_mul_f32_e32 v6, v100, v64
	v_fma_f32 v71, v25, v71, -v24
	v_fmac_f32_e32 v30, v80, v29
	v_mul_f32_e32 v80, v87, v36
	v_fma_f32 v87, v99, v63, -v6
	v_mul_f32_e32 v64, v99, v64
	v_mul_f32_e32 v6, v94, v66
	v_fmac_f32_e32 v57, v23, v7
	v_fmac_f32_e32 v64, v100, v63
	v_fma_f32 v63, v93, v65, -v6
	v_mul_f32_e32 v66, v93, v66
	v_mul_f32_e32 v6, v104, v48
	v_add_f32_e32 v7, v71, v72
	v_fmac_f32_e32 v66, v94, v65
	v_fma_f32 v65, v103, v47, -v6
	v_mul_f32_e32 v6, v98, v50
	v_fma_f32 v23, -0.5, v7, v0
	v_fmac_f32_e32 v82, v86, v39
	v_mul_f32_e32 v86, v89, v44
	v_fma_f32 v89, v97, v49, -v6
	v_mul_f32_e32 v6, v102, v68
	v_sub_f32_e32 v7, v57, v30
	v_mov_b32_e32 v25, v23
	v_fma_f32 v91, v101, v67, -v6
	v_mul_f32_e32 v68, v101, v68
	v_mul_f32_e32 v6, v76, v70
	v_fmac_f32_e32 v25, 0x3f737871, v7
	v_sub_f32_e32 v24, v107, v108
	v_sub_f32_e32 v27, v55, v71
	;; [unrolled: 1-line block ×3, first 2 shown]
	v_fmac_f32_e32 v23, 0xbf737871, v7
	v_fmac_f32_e32 v68, v102, v67
	v_fma_f32 v67, v75, v69, -v6
	v_mul_f32_e32 v70, v75, v70
	v_mul_f32_e32 v6, v106, v52
	v_fmac_f32_e32 v25, 0x3f167918, v24
	v_add_f32_e32 v27, v27, v28
	v_fmac_f32_e32 v23, 0xbf167918, v24
	v_fmac_f32_e32 v70, v76, v69
	v_fma_f32 v69, v105, v51, -v6
	v_mul_f32_e32 v6, v61, v54
	v_fmac_f32_e32 v25, 0x3e9e377a, v27
	v_fmac_f32_e32 v23, 0x3e9e377a, v27
	v_add_f32_e32 v27, v55, v26
	v_fma_f32 v76, v60, v53, -v6
	v_add_f32_e32 v6, v0, v55
	v_fma_f32 v0, -0.5, v27, v0
	v_mov_b32_e32 v27, v0
	v_add_f32_e32 v6, v6, v71
	v_fmac_f32_e32 v27, 0xbf737871, v24
	v_fmac_f32_e32 v0, 0x3f737871, v24
	v_add_f32_e32 v24, v107, v108
	v_add_f32_e32 v6, v6, v72
	v_sub_f32_e32 v28, v71, v55
	v_sub_f32_e32 v29, v72, v26
	v_fma_f32 v24, -0.5, v24, v1
	v_add_f32_e32 v6, v6, v26
	v_fmac_f32_e32 v27, 0x3f167918, v7
	v_add_f32_e32 v28, v28, v29
	v_fmac_f32_e32 v0, 0xbf167918, v7
	v_sub_f32_e32 v29, v55, v26
	v_mov_b32_e32 v26, v24
	v_fmac_f32_e32 v27, 0x3e9e377a, v28
	v_fmac_f32_e32 v0, 0x3e9e377a, v28
	;; [unrolled: 1-line block ×3, first 2 shown]
	v_sub_f32_e32 v31, v71, v72
	v_sub_f32_e32 v28, v57, v107
	;; [unrolled: 1-line block ×3, first 2 shown]
	v_fmac_f32_e32 v24, 0x3f737871, v29
	v_fmac_f32_e32 v26, 0xbf167918, v31
	v_add_f32_e32 v28, v28, v32
	v_fmac_f32_e32 v24, 0x3f167918, v31
	v_add_f32_e32 v7, v1, v57
	v_fmac_f32_e32 v26, 0x3e9e377a, v28
	v_fmac_f32_e32 v24, 0x3e9e377a, v28
	v_add_f32_e32 v28, v57, v30
	v_add_f32_e32 v7, v7, v107
	v_fma_f32 v1, -0.5, v28, v1
	v_add_f32_e32 v7, v7, v108
	v_mov_b32_e32 v28, v1
	v_add_f32_e32 v7, v7, v30
	v_fmac_f32_e32 v28, 0x3f737871, v31
	v_sub_f32_e32 v32, v107, v57
	v_sub_f32_e32 v30, v108, v30
	v_fmac_f32_e32 v1, 0xbf737871, v31
	v_fmac_f32_e32 v28, 0xbf167918, v29
	v_add_f32_e32 v30, v32, v30
	v_fmac_f32_e32 v1, 0x3f167918, v29
	v_fmac_f32_e32 v28, 0x3e9e377a, v30
	;; [unrolled: 1-line block ×3, first 2 shown]
	v_add_f32_e32 v30, v79, v74
	v_fma_f32 v31, -0.5, v30, v2
	v_fmac_f32_e32 v80, v88, v35
	v_sub_f32_e32 v30, v77, v38
	v_mov_b32_e32 v33, v31
	v_fmac_f32_e32 v33, 0x3f737871, v30
	v_sub_f32_e32 v32, v73, v80
	v_sub_f32_e32 v35, v78, v79
	;; [unrolled: 1-line block ×3, first 2 shown]
	v_fmac_f32_e32 v31, 0xbf737871, v30
	v_fmac_f32_e32 v33, 0x3f167918, v32
	v_add_f32_e32 v35, v35, v36
	v_fmac_f32_e32 v31, 0xbf167918, v32
	v_fmac_f32_e32 v33, 0x3e9e377a, v35
	v_fmac_f32_e32 v31, 0x3e9e377a, v35
	v_add_f32_e32 v35, v78, v34
	v_add_f32_e32 v29, v2, v78
	v_fma_f32 v2, -0.5, v35, v2
	v_mov_b32_e32 v35, v2
	v_add_f32_e32 v29, v29, v79
	v_fmac_f32_e32 v35, 0xbf737871, v32
	v_fmac_f32_e32 v2, 0x3f737871, v32
	v_add_f32_e32 v32, v73, v80
	v_add_f32_e32 v29, v29, v74
	v_sub_f32_e32 v36, v79, v78
	v_sub_f32_e32 v37, v74, v34
	v_fma_f32 v32, -0.5, v32, v3
	v_add_f32_e32 v29, v29, v34
	v_fmac_f32_e32 v35, 0x3f167918, v30
	v_add_f32_e32 v36, v36, v37
	v_fmac_f32_e32 v2, 0xbf167918, v30
	v_sub_f32_e32 v37, v78, v34
	v_mov_b32_e32 v34, v32
	v_fmac_f32_e32 v35, 0x3e9e377a, v36
	v_fmac_f32_e32 v2, 0x3e9e377a, v36
	;; [unrolled: 1-line block ×3, first 2 shown]
	v_sub_f32_e32 v39, v79, v74
	v_sub_f32_e32 v36, v77, v73
	;; [unrolled: 1-line block ×3, first 2 shown]
	v_fmac_f32_e32 v32, 0x3f737871, v37
	v_fmac_f32_e32 v34, 0xbf167918, v39
	v_add_f32_e32 v36, v36, v40
	v_fmac_f32_e32 v32, 0x3f167918, v39
	v_add_f32_e32 v30, v3, v77
	v_fmac_f32_e32 v34, 0x3e9e377a, v36
	v_fmac_f32_e32 v32, 0x3e9e377a, v36
	v_add_f32_e32 v36, v77, v38
	v_add_f32_e32 v30, v30, v73
	v_fmac_f32_e32 v3, -0.5, v36
	v_add_f32_e32 v30, v30, v80
	v_mov_b32_e32 v36, v3
	v_add_f32_e32 v30, v30, v38
	v_fmac_f32_e32 v36, 0x3f737871, v39
	v_sub_f32_e32 v40, v73, v77
	v_sub_f32_e32 v38, v80, v38
	v_fmac_f32_e32 v3, 0xbf737871, v39
	v_fmac_f32_e32 v36, 0xbf167918, v37
	v_add_f32_e32 v38, v40, v38
	v_fmac_f32_e32 v3, 0x3f167918, v37
	v_mul_f32_e32 v46, v95, v46
	v_fmac_f32_e32 v36, 0x3e9e377a, v38
	v_fmac_f32_e32 v3, 0x3e9e377a, v38
	v_add_f32_e32 v38, v83, v85
	v_fmac_f32_e32 v46, v96, v45
	v_fma_f32 v39, -0.5, v38, v8
	v_fmac_f32_e32 v84, v92, v41
	v_fmac_f32_e32 v86, v90, v43
	v_sub_f32_e32 v38, v82, v46
	v_mov_b32_e32 v41, v39
	v_fmac_f32_e32 v41, 0x3f737871, v38
	v_sub_f32_e32 v40, v84, v86
	v_sub_f32_e32 v43, v81, v83
	;; [unrolled: 1-line block ×3, first 2 shown]
	v_fmac_f32_e32 v39, 0xbf737871, v38
	v_fmac_f32_e32 v41, 0x3f167918, v40
	v_add_f32_e32 v43, v43, v44
	v_fmac_f32_e32 v39, 0xbf167918, v40
	v_fmac_f32_e32 v41, 0x3e9e377a, v43
	;; [unrolled: 1-line block ×3, first 2 shown]
	v_add_f32_e32 v43, v81, v42
	v_add_f32_e32 v37, v8, v81
	v_fma_f32 v8, -0.5, v43, v8
	v_mov_b32_e32 v43, v8
	v_add_f32_e32 v37, v37, v83
	v_fmac_f32_e32 v43, 0xbf737871, v40
	v_fmac_f32_e32 v8, 0x3f737871, v40
	v_add_f32_e32 v40, v84, v86
	v_add_f32_e32 v37, v37, v85
	v_sub_f32_e32 v44, v83, v81
	v_sub_f32_e32 v45, v85, v42
	v_fma_f32 v40, -0.5, v40, v9
	v_mul_f32_e32 v88, v103, v48
	v_add_f32_e32 v37, v37, v42
	v_fmac_f32_e32 v43, 0x3f167918, v38
	v_add_f32_e32 v44, v44, v45
	v_fmac_f32_e32 v8, 0xbf167918, v38
	v_sub_f32_e32 v45, v81, v42
	v_mov_b32_e32 v42, v40
	v_fmac_f32_e32 v88, v104, v47
	v_fmac_f32_e32 v43, 0x3e9e377a, v44
	;; [unrolled: 1-line block ×4, first 2 shown]
	v_sub_f32_e32 v47, v83, v85
	v_sub_f32_e32 v44, v82, v84
	;; [unrolled: 1-line block ×3, first 2 shown]
	v_fmac_f32_e32 v40, 0x3f737871, v45
	v_fmac_f32_e32 v42, 0xbf167918, v47
	v_add_f32_e32 v44, v44, v48
	v_fmac_f32_e32 v40, 0x3f167918, v47
	v_add_f32_e32 v38, v9, v82
	v_fmac_f32_e32 v42, 0x3e9e377a, v44
	v_fmac_f32_e32 v40, 0x3e9e377a, v44
	v_add_f32_e32 v44, v82, v46
	v_add_f32_e32 v38, v38, v84
	v_fma_f32 v9, -0.5, v44, v9
	v_add_f32_e32 v38, v38, v86
	v_mov_b32_e32 v44, v9
	v_add_f32_e32 v38, v38, v46
	v_fmac_f32_e32 v44, 0x3f737871, v47
	v_sub_f32_e32 v48, v84, v82
	v_sub_f32_e32 v46, v86, v46
	v_fmac_f32_e32 v9, 0xbf737871, v47
	v_fmac_f32_e32 v44, 0xbf167918, v45
	v_add_f32_e32 v46, v48, v46
	v_fmac_f32_e32 v9, 0x3f167918, v45
	v_mul_f32_e32 v90, v97, v50
	v_fmac_f32_e32 v44, 0x3e9e377a, v46
	v_fmac_f32_e32 v9, 0x3e9e377a, v46
	v_add_f32_e32 v46, v63, v65
	v_fmac_f32_e32 v90, v98, v49
	v_fma_f32 v47, -0.5, v46, v10
	v_mul_f32_e32 v75, v105, v52
	v_sub_f32_e32 v46, v64, v90
	v_mov_b32_e32 v49, v47
	v_fmac_f32_e32 v75, v106, v51
	v_fmac_f32_e32 v49, 0x3f737871, v46
	v_sub_f32_e32 v48, v66, v88
	v_sub_f32_e32 v50, v87, v63
	;; [unrolled: 1-line block ×3, first 2 shown]
	v_fmac_f32_e32 v47, 0xbf737871, v46
	v_fmac_f32_e32 v49, 0x3f167918, v48
	v_add_f32_e32 v50, v50, v51
	v_fmac_f32_e32 v47, 0xbf167918, v48
	v_fmac_f32_e32 v49, 0x3e9e377a, v50
	;; [unrolled: 1-line block ×3, first 2 shown]
	v_add_f32_e32 v50, v87, v89
	v_add_f32_e32 v45, v10, v87
	v_fma_f32 v10, -0.5, v50, v10
	v_mov_b32_e32 v51, v10
	v_fmac_f32_e32 v51, 0xbf737871, v48
	v_sub_f32_e32 v50, v63, v87
	v_sub_f32_e32 v52, v65, v89
	v_fmac_f32_e32 v10, 0x3f737871, v48
	v_add_f32_e32 v48, v66, v88
	v_mul_f32_e32 v92, v60, v54
	v_fmac_f32_e32 v51, 0x3f167918, v46
	v_add_f32_e32 v50, v50, v52
	v_fmac_f32_e32 v10, 0xbf167918, v46
	v_fma_f32 v48, -0.5, v48, v11
	v_fmac_f32_e32 v92, v61, v53
	v_fmac_f32_e32 v51, 0x3e9e377a, v50
	;; [unrolled: 1-line block ×3, first 2 shown]
	v_sub_f32_e32 v53, v87, v89
	v_mov_b32_e32 v50, v48
	v_fmac_f32_e32 v50, 0xbf737871, v53
	v_sub_f32_e32 v54, v63, v65
	v_sub_f32_e32 v52, v64, v66
	;; [unrolled: 1-line block ×3, first 2 shown]
	v_fmac_f32_e32 v48, 0x3f737871, v53
	v_fmac_f32_e32 v50, 0xbf167918, v54
	v_add_f32_e32 v52, v52, v55
	v_fmac_f32_e32 v48, 0x3f167918, v54
	v_fmac_f32_e32 v50, 0x3e9e377a, v52
	;; [unrolled: 1-line block ×3, first 2 shown]
	v_add_f32_e32 v52, v64, v90
	v_add_f32_e32 v46, v11, v64
	v_fmac_f32_e32 v11, -0.5, v52
	v_mov_b32_e32 v52, v11
	v_fmac_f32_e32 v52, 0x3f737871, v54
	v_fmac_f32_e32 v11, 0xbf737871, v54
	v_add_f32_e32 v54, v67, v69
	v_sub_f32_e32 v55, v66, v64
	v_sub_f32_e32 v57, v88, v90
	v_fma_f32 v60, -0.5, v54, v4
	v_add_f32_e32 v45, v45, v63
	v_fmac_f32_e32 v52, 0xbf167918, v53
	v_add_f32_e32 v55, v55, v57
	v_fmac_f32_e32 v11, 0x3f167918, v53
	v_sub_f32_e32 v54, v68, v92
	v_mov_b32_e32 v63, v60
	v_fmac_f32_e32 v52, 0x3e9e377a, v55
	v_fmac_f32_e32 v11, 0x3e9e377a, v55
	;; [unrolled: 1-line block ×3, first 2 shown]
	v_sub_f32_e32 v55, v70, v75
	v_sub_f32_e32 v57, v91, v67
	;; [unrolled: 1-line block ×3, first 2 shown]
	v_fmac_f32_e32 v60, 0xbf737871, v54
	v_fmac_f32_e32 v63, 0x3f167918, v55
	v_add_f32_e32 v57, v57, v61
	v_fmac_f32_e32 v60, 0xbf167918, v55
	v_fmac_f32_e32 v63, 0x3e9e377a, v57
	;; [unrolled: 1-line block ×3, first 2 shown]
	v_add_f32_e32 v57, v91, v76
	v_add_f32_e32 v53, v4, v91
	v_fma_f32 v4, -0.5, v57, v4
	v_add_f32_e32 v45, v45, v65
	v_mov_b32_e32 v65, v4
	v_fmac_f32_e32 v65, 0xbf737871, v55
	v_sub_f32_e32 v57, v67, v91
	v_sub_f32_e32 v61, v69, v76
	v_fmac_f32_e32 v4, 0x3f737871, v55
	v_add_f32_e32 v55, v70, v75
	v_add_f32_e32 v57, v57, v61
	v_fma_f32 v61, -0.5, v55, v5
	v_fmac_f32_e32 v65, 0x3f167918, v54
	v_fmac_f32_e32 v4, 0xbf167918, v54
	v_sub_f32_e32 v55, v91, v76
	v_mov_b32_e32 v64, v61
	v_add_f32_e32 v46, v46, v66
	v_add_f32_e32 v53, v53, v67
	v_fmac_f32_e32 v65, 0x3e9e377a, v57
	v_fmac_f32_e32 v4, 0x3e9e377a, v57
	;; [unrolled: 1-line block ×3, first 2 shown]
	v_sub_f32_e32 v57, v67, v69
	v_sub_f32_e32 v66, v68, v70
	;; [unrolled: 1-line block ×3, first 2 shown]
	v_fmac_f32_e32 v61, 0x3f737871, v55
	v_fmac_f32_e32 v64, 0xbf167918, v57
	v_add_f32_e32 v66, v66, v67
	v_fmac_f32_e32 v61, 0x3f167918, v57
	v_fmac_f32_e32 v64, 0x3e9e377a, v66
	;; [unrolled: 1-line block ×3, first 2 shown]
	v_add_f32_e32 v66, v68, v92
	v_add_f32_e32 v54, v5, v68
	v_fmac_f32_e32 v5, -0.5, v66
	v_mov_b32_e32 v66, v5
	v_add_f32_e32 v54, v54, v70
	v_fmac_f32_e32 v66, 0x3f737871, v57
	v_sub_f32_e32 v67, v70, v68
	v_sub_f32_e32 v68, v75, v92
	v_fmac_f32_e32 v5, 0xbf737871, v57
	v_add_f32_e32 v46, v46, v88
	v_add_f32_e32 v53, v53, v69
	;; [unrolled: 1-line block ×3, first 2 shown]
	v_fmac_f32_e32 v66, 0xbf167918, v55
	v_add_f32_e32 v67, v67, v68
	v_fmac_f32_e32 v5, 0x3f167918, v55
	v_add_f32_e32 v45, v45, v89
	v_add_f32_e32 v46, v46, v90
	;; [unrolled: 1-line block ×4, first 2 shown]
	v_fmac_f32_e32 v66, 0x3e9e377a, v67
	v_fmac_f32_e32 v5, 0x3e9e377a, v67
	ds_write2_b64 v62, v[6:7], v[29:30] offset1:90
	ds_write2_b64 v20, v[27:28], v[35:36] offset0:132 offset1:222
	ds_write2_b64 v18, v[23:24], v[31:32] offset0:8 offset1:98
	;; [unrolled: 1-line block ×11, first 2 shown]
	ds_write_b64 v62, v[60:61] offset:17280
	s_waitcnt lgkmcnt(0)
	s_barrier
	s_and_saveexec_b64 s[2:3], s[0:1]
	s_cbranch_execz .LBB0_31
; %bb.30:
	v_lshl_add_u32 v6, v56, 3, 0
	v_mov_b32_e32 v57, 0
	ds_read2_b64 v[0:3], v6 offset1:90
	v_mov_b32_e32 v4, s13
	v_add_co_u32_e32 v7, vcc, s12, v58
	v_addc_co_u32_e32 v8, vcc, v4, v59, vcc
	v_lshlrev_b64 v[4:5], 3, v[56:57]
	v_add_co_u32_e32 v4, vcc, v7, v4
	v_addc_co_u32_e32 v5, vcc, v8, v5, vcc
	s_waitcnt lgkmcnt(0)
	global_store_dwordx2 v[4:5], v[0:1], off
	v_add_u32_e32 v0, 0x5a, v56
	v_mov_b32_e32 v1, v57
	v_lshlrev_b64 v[0:1], 3, v[0:1]
	v_add_u32_e32 v4, 0xb4, v56
	v_add_co_u32_e32 v0, vcc, v7, v0
	v_addc_co_u32_e32 v1, vcc, v8, v1, vcc
	global_store_dwordx2 v[0:1], v[2:3], off
	v_add_u32_e32 v0, 0x400, v6
	v_mov_b32_e32 v5, v57
	ds_read2_b64 v[0:3], v0 offset0:52 offset1:142
	v_lshlrev_b64 v[4:5], 3, v[4:5]
	v_add_co_u32_e32 v4, vcc, v7, v4
	v_addc_co_u32_e32 v5, vcc, v8, v5, vcc
	s_waitcnt lgkmcnt(0)
	global_store_dwordx2 v[4:5], v[0:1], off
	v_add_u32_e32 v0, 0x10e, v56
	v_mov_b32_e32 v1, v57
	v_lshlrev_b64 v[0:1], 3, v[0:1]
	v_add_u32_e32 v4, 0x168, v56
	v_add_co_u32_e32 v0, vcc, v7, v0
	v_addc_co_u32_e32 v1, vcc, v8, v1, vcc
	global_store_dwordx2 v[0:1], v[2:3], off
	v_add_u32_e32 v0, 0x800, v6
	v_mov_b32_e32 v5, v57
	ds_read2_b64 v[0:3], v0 offset0:104 offset1:194
	;; [unrolled: 15-line block ×11, first 2 shown]
	v_lshlrev_b64 v[4:5], 3, v[4:5]
	v_add_co_u32_e32 v4, vcc, v7, v4
	v_addc_co_u32_e32 v5, vcc, v8, v5, vcc
	s_waitcnt lgkmcnt(0)
	global_store_dwordx2 v[4:5], v[0:1], off
	v_add_u32_e32 v0, 0x816, v56
	v_mov_b32_e32 v1, v57
	v_lshlrev_b64 v[0:1], 3, v[0:1]
	v_add_u32_e32 v56, 0x870, v56
	v_add_co_u32_e32 v0, vcc, v7, v0
	v_addc_co_u32_e32 v1, vcc, v8, v1, vcc
	global_store_dwordx2 v[0:1], v[2:3], off
	ds_read_b64 v[0:1], v6 offset:17280
	v_lshlrev_b64 v[2:3], 3, v[56:57]
	v_add_co_u32_e32 v2, vcc, v7, v2
	v_addc_co_u32_e32 v3, vcc, v8, v3, vcc
	s_waitcnt lgkmcnt(0)
	global_store_dwordx2 v[2:3], v[0:1], off
.LBB0_31:
	s_endpgm
	.section	.rodata,"a",@progbits
	.p2align	6, 0x0
	.amdhsa_kernel fft_rtc_fwd_len2250_factors_10_3_5_3_5_wgs_90_tpt_90_halfLds_sp_ip_CI_unitstride_sbrr_C2R_dirReg
		.amdhsa_group_segment_fixed_size 0
		.amdhsa_private_segment_fixed_size 0
		.amdhsa_kernarg_size 88
		.amdhsa_user_sgpr_count 6
		.amdhsa_user_sgpr_private_segment_buffer 1
		.amdhsa_user_sgpr_dispatch_ptr 0
		.amdhsa_user_sgpr_queue_ptr 0
		.amdhsa_user_sgpr_kernarg_segment_ptr 1
		.amdhsa_user_sgpr_dispatch_id 0
		.amdhsa_user_sgpr_flat_scratch_init 0
		.amdhsa_user_sgpr_private_segment_size 0
		.amdhsa_uses_dynamic_stack 0
		.amdhsa_system_sgpr_private_segment_wavefront_offset 0
		.amdhsa_system_sgpr_workgroup_id_x 1
		.amdhsa_system_sgpr_workgroup_id_y 0
		.amdhsa_system_sgpr_workgroup_id_z 0
		.amdhsa_system_sgpr_workgroup_info 0
		.amdhsa_system_vgpr_workitem_id 0
		.amdhsa_next_free_vgpr 123
		.amdhsa_next_free_sgpr 22
		.amdhsa_reserve_vcc 1
		.amdhsa_reserve_flat_scratch 0
		.amdhsa_float_round_mode_32 0
		.amdhsa_float_round_mode_16_64 0
		.amdhsa_float_denorm_mode_32 3
		.amdhsa_float_denorm_mode_16_64 3
		.amdhsa_dx10_clamp 1
		.amdhsa_ieee_mode 1
		.amdhsa_fp16_overflow 0
		.amdhsa_exception_fp_ieee_invalid_op 0
		.amdhsa_exception_fp_denorm_src 0
		.amdhsa_exception_fp_ieee_div_zero 0
		.amdhsa_exception_fp_ieee_overflow 0
		.amdhsa_exception_fp_ieee_underflow 0
		.amdhsa_exception_fp_ieee_inexact 0
		.amdhsa_exception_int_div_zero 0
	.end_amdhsa_kernel
	.text
.Lfunc_end0:
	.size	fft_rtc_fwd_len2250_factors_10_3_5_3_5_wgs_90_tpt_90_halfLds_sp_ip_CI_unitstride_sbrr_C2R_dirReg, .Lfunc_end0-fft_rtc_fwd_len2250_factors_10_3_5_3_5_wgs_90_tpt_90_halfLds_sp_ip_CI_unitstride_sbrr_C2R_dirReg
                                        ; -- End function
	.section	.AMDGPU.csdata,"",@progbits
; Kernel info:
; codeLenInByte = 17352
; NumSgprs: 26
; NumVgprs: 123
; ScratchSize: 0
; MemoryBound: 0
; FloatMode: 240
; IeeeMode: 1
; LDSByteSize: 0 bytes/workgroup (compile time only)
; SGPRBlocks: 3
; VGPRBlocks: 30
; NumSGPRsForWavesPerEU: 26
; NumVGPRsForWavesPerEU: 123
; Occupancy: 2
; WaveLimiterHint : 1
; COMPUTE_PGM_RSRC2:SCRATCH_EN: 0
; COMPUTE_PGM_RSRC2:USER_SGPR: 6
; COMPUTE_PGM_RSRC2:TRAP_HANDLER: 0
; COMPUTE_PGM_RSRC2:TGID_X_EN: 1
; COMPUTE_PGM_RSRC2:TGID_Y_EN: 0
; COMPUTE_PGM_RSRC2:TGID_Z_EN: 0
; COMPUTE_PGM_RSRC2:TIDIG_COMP_CNT: 0
	.type	__hip_cuid_d6a7ff5d289f5794,@object ; @__hip_cuid_d6a7ff5d289f5794
	.section	.bss,"aw",@nobits
	.globl	__hip_cuid_d6a7ff5d289f5794
__hip_cuid_d6a7ff5d289f5794:
	.byte	0                               ; 0x0
	.size	__hip_cuid_d6a7ff5d289f5794, 1

	.ident	"AMD clang version 19.0.0git (https://github.com/RadeonOpenCompute/llvm-project roc-6.4.0 25133 c7fe45cf4b819c5991fe208aaa96edf142730f1d)"
	.section	".note.GNU-stack","",@progbits
	.addrsig
	.addrsig_sym __hip_cuid_d6a7ff5d289f5794
	.amdgpu_metadata
---
amdhsa.kernels:
  - .args:
      - .actual_access:  read_only
        .address_space:  global
        .offset:         0
        .size:           8
        .value_kind:     global_buffer
      - .offset:         8
        .size:           8
        .value_kind:     by_value
      - .actual_access:  read_only
        .address_space:  global
        .offset:         16
        .size:           8
        .value_kind:     global_buffer
      - .actual_access:  read_only
        .address_space:  global
        .offset:         24
        .size:           8
        .value_kind:     global_buffer
      - .offset:         32
        .size:           8
        .value_kind:     by_value
      - .actual_access:  read_only
        .address_space:  global
        .offset:         40
        .size:           8
        .value_kind:     global_buffer
      - .actual_access:  read_only
        .address_space:  global
        .offset:         48
        .size:           8
        .value_kind:     global_buffer
      - .offset:         56
        .size:           4
        .value_kind:     by_value
      - .actual_access:  read_only
        .address_space:  global
        .offset:         64
        .size:           8
        .value_kind:     global_buffer
      - .actual_access:  read_only
        .address_space:  global
        .offset:         72
        .size:           8
        .value_kind:     global_buffer
      - .address_space:  global
        .offset:         80
        .size:           8
        .value_kind:     global_buffer
    .group_segment_fixed_size: 0
    .kernarg_segment_align: 8
    .kernarg_segment_size: 88
    .language:       OpenCL C
    .language_version:
      - 2
      - 0
    .max_flat_workgroup_size: 90
    .name:           fft_rtc_fwd_len2250_factors_10_3_5_3_5_wgs_90_tpt_90_halfLds_sp_ip_CI_unitstride_sbrr_C2R_dirReg
    .private_segment_fixed_size: 0
    .sgpr_count:     26
    .sgpr_spill_count: 0
    .symbol:         fft_rtc_fwd_len2250_factors_10_3_5_3_5_wgs_90_tpt_90_halfLds_sp_ip_CI_unitstride_sbrr_C2R_dirReg.kd
    .uniform_work_group_size: 1
    .uses_dynamic_stack: false
    .vgpr_count:     123
    .vgpr_spill_count: 0
    .wavefront_size: 64
amdhsa.target:   amdgcn-amd-amdhsa--gfx906
amdhsa.version:
  - 1
  - 2
...

	.end_amdgpu_metadata
